;; amdgpu-corpus repo=zjin-lcf/HeCBench kind=compiled arch=gfx906 opt=O3
	.amdgcn_target "amdgcn-amd-amdhsa--gfx906"
	.amdhsa_code_object_version 6
	.section	.text._Z27BlockRangeAtomicOnGlobalMemIdEvPT_i,"axG",@progbits,_Z27BlockRangeAtomicOnGlobalMemIdEvPT_i,comdat
	.protected	_Z27BlockRangeAtomicOnGlobalMemIdEvPT_i ; -- Begin function _Z27BlockRangeAtomicOnGlobalMemIdEvPT_i
	.globl	_Z27BlockRangeAtomicOnGlobalMemIdEvPT_i
	.p2align	8
	.type	_Z27BlockRangeAtomicOnGlobalMemIdEvPT_i,@function
_Z27BlockRangeAtomicOnGlobalMemIdEvPT_i: ; @_Z27BlockRangeAtomicOnGlobalMemIdEvPT_i
; %bb.0:
	s_load_dword s2, s[4:5], 0x1c
	s_load_dword s7, s[4:5], 0x8
	s_add_u32 s0, s4, 16
	s_addc_u32 s1, s5, 0
	s_waitcnt lgkmcnt(0)
	s_and_b32 s2, s2, 0xffff
	s_mul_i32 s6, s6, s2
	v_add_u32_e32 v6, s6, v0
	v_cmp_gt_u32_e32 vcc, s7, v6
	s_and_saveexec_b64 s[8:9], vcc
	s_cbranch_execz .LBB0_5
; %bb.1:
	s_load_dwordx2 s[8:9], s[4:5], 0x0
	s_load_dword s3, s[0:1], 0x0
	v_lshlrev_b32_e32 v0, 3, v0
	s_mov_b64 s[0:1], 0
	s_waitcnt lgkmcnt(0)
	v_mov_b32_e32 v1, s9
	v_add_co_u32_e32 v4, vcc, s8, v0
	v_addc_co_u32_e32 v5, vcc, 0, v1, vcc
	s_mul_i32 s4, s3, s2
.LBB0_2:                                ; =>This Loop Header: Depth=1
                                        ;     Child Loop BB0_3 Depth 2
	global_load_dwordx2 v[2:3], v[4:5], off
	s_mov_b64 s[2:3], 0
.LBB0_3:                                ;   Parent Loop BB0_2 Depth=1
                                        ; =>  This Inner Loop Header: Depth=2
	s_waitcnt vmcnt(0)
	v_add_f64 v[0:1], v[2:3], 1.0
	global_atomic_cmpswap_x2 v[0:1], v[4:5], v[0:3], off glc
	s_waitcnt vmcnt(0)
	v_cmp_eq_u64_e32 vcc, v[0:1], v[2:3]
	v_mov_b32_e32 v3, v1
	s_or_b64 s[2:3], vcc, s[2:3]
	v_mov_b32_e32 v2, v0
	s_andn2_b64 exec, exec, s[2:3]
	s_cbranch_execnz .LBB0_3
; %bb.4:                                ;   in Loop: Header=BB0_2 Depth=1
	s_or_b64 exec, exec, s[2:3]
	v_add_u32_e32 v6, s4, v6
	v_cmp_le_u32_e32 vcc, s7, v6
	s_or_b64 s[0:1], vcc, s[0:1]
	s_andn2_b64 exec, exec, s[0:1]
	s_cbranch_execnz .LBB0_2
.LBB0_5:
	s_endpgm
	.section	.rodata,"a",@progbits
	.p2align	6, 0x0
	.amdhsa_kernel _Z27BlockRangeAtomicOnGlobalMemIdEvPT_i
		.amdhsa_group_segment_fixed_size 0
		.amdhsa_private_segment_fixed_size 0
		.amdhsa_kernarg_size 272
		.amdhsa_user_sgpr_count 6
		.amdhsa_user_sgpr_private_segment_buffer 1
		.amdhsa_user_sgpr_dispatch_ptr 0
		.amdhsa_user_sgpr_queue_ptr 0
		.amdhsa_user_sgpr_kernarg_segment_ptr 1
		.amdhsa_user_sgpr_dispatch_id 0
		.amdhsa_user_sgpr_flat_scratch_init 0
		.amdhsa_user_sgpr_private_segment_size 0
		.amdhsa_uses_dynamic_stack 0
		.amdhsa_system_sgpr_private_segment_wavefront_offset 0
		.amdhsa_system_sgpr_workgroup_id_x 1
		.amdhsa_system_sgpr_workgroup_id_y 0
		.amdhsa_system_sgpr_workgroup_id_z 0
		.amdhsa_system_sgpr_workgroup_info 0
		.amdhsa_system_vgpr_workitem_id 0
		.amdhsa_next_free_vgpr 7
		.amdhsa_next_free_sgpr 10
		.amdhsa_reserve_vcc 1
		.amdhsa_reserve_flat_scratch 0
		.amdhsa_float_round_mode_32 0
		.amdhsa_float_round_mode_16_64 0
		.amdhsa_float_denorm_mode_32 3
		.amdhsa_float_denorm_mode_16_64 3
		.amdhsa_dx10_clamp 1
		.amdhsa_ieee_mode 1
		.amdhsa_fp16_overflow 0
		.amdhsa_exception_fp_ieee_invalid_op 0
		.amdhsa_exception_fp_denorm_src 0
		.amdhsa_exception_fp_ieee_div_zero 0
		.amdhsa_exception_fp_ieee_overflow 0
		.amdhsa_exception_fp_ieee_underflow 0
		.amdhsa_exception_fp_ieee_inexact 0
		.amdhsa_exception_int_div_zero 0
	.end_amdhsa_kernel
	.section	.text._Z27BlockRangeAtomicOnGlobalMemIdEvPT_i,"axG",@progbits,_Z27BlockRangeAtomicOnGlobalMemIdEvPT_i,comdat
.Lfunc_end0:
	.size	_Z27BlockRangeAtomicOnGlobalMemIdEvPT_i, .Lfunc_end0-_Z27BlockRangeAtomicOnGlobalMemIdEvPT_i
                                        ; -- End function
	.set _Z27BlockRangeAtomicOnGlobalMemIdEvPT_i.num_vgpr, 7
	.set _Z27BlockRangeAtomicOnGlobalMemIdEvPT_i.num_agpr, 0
	.set _Z27BlockRangeAtomicOnGlobalMemIdEvPT_i.numbered_sgpr, 10
	.set _Z27BlockRangeAtomicOnGlobalMemIdEvPT_i.num_named_barrier, 0
	.set _Z27BlockRangeAtomicOnGlobalMemIdEvPT_i.private_seg_size, 0
	.set _Z27BlockRangeAtomicOnGlobalMemIdEvPT_i.uses_vcc, 1
	.set _Z27BlockRangeAtomicOnGlobalMemIdEvPT_i.uses_flat_scratch, 0
	.set _Z27BlockRangeAtomicOnGlobalMemIdEvPT_i.has_dyn_sized_stack, 0
	.set _Z27BlockRangeAtomicOnGlobalMemIdEvPT_i.has_recursion, 0
	.set _Z27BlockRangeAtomicOnGlobalMemIdEvPT_i.has_indirect_call, 0
	.section	.AMDGPU.csdata,"",@progbits
; Kernel info:
; codeLenInByte = 188
; TotalNumSgprs: 14
; NumVgprs: 7
; ScratchSize: 0
; MemoryBound: 0
; FloatMode: 240
; IeeeMode: 1
; LDSByteSize: 0 bytes/workgroup (compile time only)
; SGPRBlocks: 1
; VGPRBlocks: 1
; NumSGPRsForWavesPerEU: 14
; NumVGPRsForWavesPerEU: 7
; Occupancy: 10
; WaveLimiterHint : 0
; COMPUTE_PGM_RSRC2:SCRATCH_EN: 0
; COMPUTE_PGM_RSRC2:USER_SGPR: 6
; COMPUTE_PGM_RSRC2:TRAP_HANDLER: 0
; COMPUTE_PGM_RSRC2:TGID_X_EN: 1
; COMPUTE_PGM_RSRC2:TGID_Y_EN: 0
; COMPUTE_PGM_RSRC2:TGID_Z_EN: 0
; COMPUTE_PGM_RSRC2:TIDIG_COMP_CNT: 0
	.section	.text._Z26WarpRangeAtomicOnGlobalMemIdEvPT_i,"axG",@progbits,_Z26WarpRangeAtomicOnGlobalMemIdEvPT_i,comdat
	.protected	_Z26WarpRangeAtomicOnGlobalMemIdEvPT_i ; -- Begin function _Z26WarpRangeAtomicOnGlobalMemIdEvPT_i
	.globl	_Z26WarpRangeAtomicOnGlobalMemIdEvPT_i
	.p2align	8
	.type	_Z26WarpRangeAtomicOnGlobalMemIdEvPT_i,@function
_Z26WarpRangeAtomicOnGlobalMemIdEvPT_i: ; @_Z26WarpRangeAtomicOnGlobalMemIdEvPT_i
; %bb.0:
	s_load_dword s0, s[4:5], 0x1c
	s_load_dword s7, s[4:5], 0x8
	s_add_u32 s2, s4, 16
	s_addc_u32 s3, s5, 0
	s_waitcnt lgkmcnt(0)
	s_and_b32 s8, s0, 0xffff
	s_mul_i32 s6, s6, s8
	v_add_u32_e32 v6, s6, v0
	v_cmp_gt_u32_e32 vcc, s7, v6
	s_and_saveexec_b64 s[0:1], vcc
	s_cbranch_execz .LBB1_5
; %bb.1:
	s_load_dword s6, s[2:3], 0x0
	s_load_dwordx2 s[0:1], s[4:5], 0x0
	s_mov_b64 s[2:3], 0
	s_waitcnt lgkmcnt(0)
	s_mul_i32 s6, s6, s8
	v_mov_b32_e32 v7, s1
.LBB1_2:                                ; =>This Loop Header: Depth=1
                                        ;     Child Loop BB1_3 Depth 2
	v_and_b32_e32 v0, 31, v6
	v_lshlrev_b32_e32 v0, 3, v0
	global_load_dwordx2 v[2:3], v0, s[0:1]
	v_add_co_u32_e32 v4, vcc, s0, v0
	v_addc_co_u32_e32 v5, vcc, 0, v7, vcc
	s_mov_b64 s[4:5], 0
.LBB1_3:                                ;   Parent Loop BB1_2 Depth=1
                                        ; =>  This Inner Loop Header: Depth=2
	s_waitcnt vmcnt(0)
	v_add_f64 v[0:1], v[2:3], 1.0
	global_atomic_cmpswap_x2 v[0:1], v[4:5], v[0:3], off glc
	s_waitcnt vmcnt(0)
	v_cmp_eq_u64_e32 vcc, v[0:1], v[2:3]
	v_mov_b32_e32 v3, v1
	s_or_b64 s[4:5], vcc, s[4:5]
	v_mov_b32_e32 v2, v0
	s_andn2_b64 exec, exec, s[4:5]
	s_cbranch_execnz .LBB1_3
; %bb.4:                                ;   in Loop: Header=BB1_2 Depth=1
	s_or_b64 exec, exec, s[4:5]
	v_add_u32_e32 v6, s6, v6
	v_cmp_le_u32_e32 vcc, s7, v6
	s_or_b64 s[2:3], vcc, s[2:3]
	s_andn2_b64 exec, exec, s[2:3]
	s_cbranch_execnz .LBB1_2
.LBB1_5:
	s_endpgm
	.section	.rodata,"a",@progbits
	.p2align	6, 0x0
	.amdhsa_kernel _Z26WarpRangeAtomicOnGlobalMemIdEvPT_i
		.amdhsa_group_segment_fixed_size 0
		.amdhsa_private_segment_fixed_size 0
		.amdhsa_kernarg_size 272
		.amdhsa_user_sgpr_count 6
		.amdhsa_user_sgpr_private_segment_buffer 1
		.amdhsa_user_sgpr_dispatch_ptr 0
		.amdhsa_user_sgpr_queue_ptr 0
		.amdhsa_user_sgpr_kernarg_segment_ptr 1
		.amdhsa_user_sgpr_dispatch_id 0
		.amdhsa_user_sgpr_flat_scratch_init 0
		.amdhsa_user_sgpr_private_segment_size 0
		.amdhsa_uses_dynamic_stack 0
		.amdhsa_system_sgpr_private_segment_wavefront_offset 0
		.amdhsa_system_sgpr_workgroup_id_x 1
		.amdhsa_system_sgpr_workgroup_id_y 0
		.amdhsa_system_sgpr_workgroup_id_z 0
		.amdhsa_system_sgpr_workgroup_info 0
		.amdhsa_system_vgpr_workitem_id 0
		.amdhsa_next_free_vgpr 8
		.amdhsa_next_free_sgpr 9
		.amdhsa_reserve_vcc 1
		.amdhsa_reserve_flat_scratch 0
		.amdhsa_float_round_mode_32 0
		.amdhsa_float_round_mode_16_64 0
		.amdhsa_float_denorm_mode_32 3
		.amdhsa_float_denorm_mode_16_64 3
		.amdhsa_dx10_clamp 1
		.amdhsa_ieee_mode 1
		.amdhsa_fp16_overflow 0
		.amdhsa_exception_fp_ieee_invalid_op 0
		.amdhsa_exception_fp_denorm_src 0
		.amdhsa_exception_fp_ieee_div_zero 0
		.amdhsa_exception_fp_ieee_overflow 0
		.amdhsa_exception_fp_ieee_underflow 0
		.amdhsa_exception_fp_ieee_inexact 0
		.amdhsa_exception_int_div_zero 0
	.end_amdhsa_kernel
	.section	.text._Z26WarpRangeAtomicOnGlobalMemIdEvPT_i,"axG",@progbits,_Z26WarpRangeAtomicOnGlobalMemIdEvPT_i,comdat
.Lfunc_end1:
	.size	_Z26WarpRangeAtomicOnGlobalMemIdEvPT_i, .Lfunc_end1-_Z26WarpRangeAtomicOnGlobalMemIdEvPT_i
                                        ; -- End function
	.set _Z26WarpRangeAtomicOnGlobalMemIdEvPT_i.num_vgpr, 8
	.set _Z26WarpRangeAtomicOnGlobalMemIdEvPT_i.num_agpr, 0
	.set _Z26WarpRangeAtomicOnGlobalMemIdEvPT_i.numbered_sgpr, 9
	.set _Z26WarpRangeAtomicOnGlobalMemIdEvPT_i.num_named_barrier, 0
	.set _Z26WarpRangeAtomicOnGlobalMemIdEvPT_i.private_seg_size, 0
	.set _Z26WarpRangeAtomicOnGlobalMemIdEvPT_i.uses_vcc, 1
	.set _Z26WarpRangeAtomicOnGlobalMemIdEvPT_i.uses_flat_scratch, 0
	.set _Z26WarpRangeAtomicOnGlobalMemIdEvPT_i.has_dyn_sized_stack, 0
	.set _Z26WarpRangeAtomicOnGlobalMemIdEvPT_i.has_recursion, 0
	.set _Z26WarpRangeAtomicOnGlobalMemIdEvPT_i.has_indirect_call, 0
	.section	.AMDGPU.csdata,"",@progbits
; Kernel info:
; codeLenInByte = 192
; TotalNumSgprs: 13
; NumVgprs: 8
; ScratchSize: 0
; MemoryBound: 0
; FloatMode: 240
; IeeeMode: 1
; LDSByteSize: 0 bytes/workgroup (compile time only)
; SGPRBlocks: 1
; VGPRBlocks: 1
; NumSGPRsForWavesPerEU: 13
; NumVGPRsForWavesPerEU: 8
; Occupancy: 10
; WaveLimiterHint : 0
; COMPUTE_PGM_RSRC2:SCRATCH_EN: 0
; COMPUTE_PGM_RSRC2:USER_SGPR: 6
; COMPUTE_PGM_RSRC2:TRAP_HANDLER: 0
; COMPUTE_PGM_RSRC2:TGID_X_EN: 1
; COMPUTE_PGM_RSRC2:TGID_Y_EN: 0
; COMPUTE_PGM_RSRC2:TGID_Z_EN: 0
; COMPUTE_PGM_RSRC2:TIDIG_COMP_CNT: 0
	.section	.text._Z28SingleRangeAtomicOnGlobalMemIdEvPT_ii,"axG",@progbits,_Z28SingleRangeAtomicOnGlobalMemIdEvPT_ii,comdat
	.protected	_Z28SingleRangeAtomicOnGlobalMemIdEvPT_ii ; -- Begin function _Z28SingleRangeAtomicOnGlobalMemIdEvPT_ii
	.globl	_Z28SingleRangeAtomicOnGlobalMemIdEvPT_ii
	.p2align	8
	.type	_Z28SingleRangeAtomicOnGlobalMemIdEvPT_ii,@function
_Z28SingleRangeAtomicOnGlobalMemIdEvPT_ii: ; @_Z28SingleRangeAtomicOnGlobalMemIdEvPT_ii
; %bb.0:
	s_load_dword s7, s[4:5], 0x1c
	s_load_dwordx2 s[0:1], s[4:5], 0x8
	s_add_u32 s2, s4, 16
	s_addc_u32 s3, s5, 0
	s_waitcnt lgkmcnt(0)
	s_and_b32 s7, s7, 0xffff
	s_mul_i32 s6, s6, s7
	v_add_u32_e32 v6, s6, v0
	v_cmp_gt_u32_e32 vcc, s1, v6
	s_and_saveexec_b64 s[8:9], vcc
	s_cbranch_execz .LBB2_6
; %bb.1:
	s_load_dwordx2 s[8:9], s[4:5], 0x0
	s_load_dword s6, s[2:3], 0x0
	s_ashr_i32 s3, s0, 31
	s_mov_b32 s2, s0
	s_lshl_b64 s[2:3], s[2:3], 3
	s_waitcnt lgkmcnt(0)
	s_add_u32 s2, s8, s2
	s_addc_u32 s3, s9, s3
	s_mul_i32 s0, s6, s7
	s_mov_b64 s[4:5], 0
	v_mov_b32_e32 v7, 0
	s_branch .LBB2_3
.LBB2_2:                                ;   in Loop: Header=BB2_3 Depth=1
	s_or_b64 exec, exec, s[6:7]
	v_add_u32_e32 v6, s0, v6
	v_cmp_le_u32_e32 vcc, s1, v6
	s_or_b64 s[4:5], vcc, s[4:5]
	s_andn2_b64 exec, exec, s[4:5]
	s_cbranch_execz .LBB2_6
.LBB2_3:                                ; =>This Loop Header: Depth=1
                                        ;     Child Loop BB2_5 Depth 2
	s_mov_b64 s[8:9], exec
	v_mbcnt_lo_u32_b32 v0, s8, 0
	v_mbcnt_hi_u32_b32 v0, s9, v0
	v_cmp_eq_u32_e32 vcc, 0, v0
	s_and_saveexec_b64 s[6:7], vcc
	s_cbranch_execz .LBB2_2
; %bb.4:                                ;   in Loop: Header=BB2_3 Depth=1
	global_load_dwordx2 v[2:3], v7, s[2:3]
	s_bcnt1_i32_b64 s8, s[8:9]
	v_cvt_f64_u32_e32 v[4:5], s8
	s_mov_b64 s[8:9], 0
.LBB2_5:                                ;   Parent Loop BB2_3 Depth=1
                                        ; =>  This Inner Loop Header: Depth=2
	s_waitcnt vmcnt(0)
	v_add_f64 v[0:1], v[2:3], v[4:5]
	global_atomic_cmpswap_x2 v[0:1], v7, v[0:3], s[2:3] glc
	s_waitcnt vmcnt(0)
	v_cmp_eq_u64_e32 vcc, v[0:1], v[2:3]
	v_mov_b32_e32 v3, v1
	s_or_b64 s[8:9], vcc, s[8:9]
	v_mov_b32_e32 v2, v0
	s_andn2_b64 exec, exec, s[8:9]
	s_cbranch_execnz .LBB2_5
	s_branch .LBB2_2
.LBB2_6:
	s_endpgm
	.section	.rodata,"a",@progbits
	.p2align	6, 0x0
	.amdhsa_kernel _Z28SingleRangeAtomicOnGlobalMemIdEvPT_ii
		.amdhsa_group_segment_fixed_size 0
		.amdhsa_private_segment_fixed_size 0
		.amdhsa_kernarg_size 272
		.amdhsa_user_sgpr_count 6
		.amdhsa_user_sgpr_private_segment_buffer 1
		.amdhsa_user_sgpr_dispatch_ptr 0
		.amdhsa_user_sgpr_queue_ptr 0
		.amdhsa_user_sgpr_kernarg_segment_ptr 1
		.amdhsa_user_sgpr_dispatch_id 0
		.amdhsa_user_sgpr_flat_scratch_init 0
		.amdhsa_user_sgpr_private_segment_size 0
		.amdhsa_uses_dynamic_stack 0
		.amdhsa_system_sgpr_private_segment_wavefront_offset 0
		.amdhsa_system_sgpr_workgroup_id_x 1
		.amdhsa_system_sgpr_workgroup_id_y 0
		.amdhsa_system_sgpr_workgroup_id_z 0
		.amdhsa_system_sgpr_workgroup_info 0
		.amdhsa_system_vgpr_workitem_id 0
		.amdhsa_next_free_vgpr 8
		.amdhsa_next_free_sgpr 10
		.amdhsa_reserve_vcc 1
		.amdhsa_reserve_flat_scratch 0
		.amdhsa_float_round_mode_32 0
		.amdhsa_float_round_mode_16_64 0
		.amdhsa_float_denorm_mode_32 3
		.amdhsa_float_denorm_mode_16_64 3
		.amdhsa_dx10_clamp 1
		.amdhsa_ieee_mode 1
		.amdhsa_fp16_overflow 0
		.amdhsa_exception_fp_ieee_invalid_op 0
		.amdhsa_exception_fp_denorm_src 0
		.amdhsa_exception_fp_ieee_div_zero 0
		.amdhsa_exception_fp_ieee_overflow 0
		.amdhsa_exception_fp_ieee_underflow 0
		.amdhsa_exception_fp_ieee_inexact 0
		.amdhsa_exception_int_div_zero 0
	.end_amdhsa_kernel
	.section	.text._Z28SingleRangeAtomicOnGlobalMemIdEvPT_ii,"axG",@progbits,_Z28SingleRangeAtomicOnGlobalMemIdEvPT_ii,comdat
.Lfunc_end2:
	.size	_Z28SingleRangeAtomicOnGlobalMemIdEvPT_ii, .Lfunc_end2-_Z28SingleRangeAtomicOnGlobalMemIdEvPT_ii
                                        ; -- End function
	.set _Z28SingleRangeAtomicOnGlobalMemIdEvPT_ii.num_vgpr, 8
	.set _Z28SingleRangeAtomicOnGlobalMemIdEvPT_ii.num_agpr, 0
	.set _Z28SingleRangeAtomicOnGlobalMemIdEvPT_ii.numbered_sgpr, 10
	.set _Z28SingleRangeAtomicOnGlobalMemIdEvPT_ii.num_named_barrier, 0
	.set _Z28SingleRangeAtomicOnGlobalMemIdEvPT_ii.private_seg_size, 0
	.set _Z28SingleRangeAtomicOnGlobalMemIdEvPT_ii.uses_vcc, 1
	.set _Z28SingleRangeAtomicOnGlobalMemIdEvPT_ii.uses_flat_scratch, 0
	.set _Z28SingleRangeAtomicOnGlobalMemIdEvPT_ii.has_dyn_sized_stack, 0
	.set _Z28SingleRangeAtomicOnGlobalMemIdEvPT_ii.has_recursion, 0
	.set _Z28SingleRangeAtomicOnGlobalMemIdEvPT_ii.has_indirect_call, 0
	.section	.AMDGPU.csdata,"",@progbits
; Kernel info:
; codeLenInByte = 244
; TotalNumSgprs: 14
; NumVgprs: 8
; ScratchSize: 0
; MemoryBound: 0
; FloatMode: 240
; IeeeMode: 1
; LDSByteSize: 0 bytes/workgroup (compile time only)
; SGPRBlocks: 1
; VGPRBlocks: 1
; NumSGPRsForWavesPerEU: 14
; NumVGPRsForWavesPerEU: 8
; Occupancy: 10
; WaveLimiterHint : 0
; COMPUTE_PGM_RSRC2:SCRATCH_EN: 0
; COMPUTE_PGM_RSRC2:USER_SGPR: 6
; COMPUTE_PGM_RSRC2:TRAP_HANDLER: 0
; COMPUTE_PGM_RSRC2:TGID_X_EN: 1
; COMPUTE_PGM_RSRC2:TGID_Y_EN: 0
; COMPUTE_PGM_RSRC2:TGID_Z_EN: 0
; COMPUTE_PGM_RSRC2:TIDIG_COMP_CNT: 0
	.section	.text._Z27BlockRangeAtomicOnSharedMemIdEvPT_i,"axG",@progbits,_Z27BlockRangeAtomicOnSharedMemIdEvPT_i,comdat
	.protected	_Z27BlockRangeAtomicOnSharedMemIdEvPT_i ; -- Begin function _Z27BlockRangeAtomicOnSharedMemIdEvPT_i
	.globl	_Z27BlockRangeAtomicOnSharedMemIdEvPT_i
	.p2align	8
	.type	_Z27BlockRangeAtomicOnSharedMemIdEvPT_i,@function
_Z27BlockRangeAtomicOnSharedMemIdEvPT_i: ; @_Z27BlockRangeAtomicOnSharedMemIdEvPT_i
; %bb.0:
	s_load_dword s0, s[4:5], 0x1c
	s_load_dword s10, s[4:5], 0x8
	;; [unrolled: 1-line block ×3, first 2 shown]
	v_lshlrev_b32_e32 v2, 3, v0
	s_waitcnt lgkmcnt(0)
	s_and_b32 s2, s0, 0xffff
	s_mul_i32 s0, s6, s2
	v_add_u32_e32 v3, s0, v0
	v_cmp_gt_u32_e32 vcc, s10, v3
	s_and_saveexec_b64 s[0:1], vcc
	s_cbranch_execz .LBB3_5
; %bb.1:
	s_mul_i32 s11, s7, s2
	s_mov_b64 s[2:3], 0
.LBB3_2:                                ; =>This Loop Header: Depth=1
                                        ;     Child Loop BB3_3 Depth 2
	ds_read_b64 v[0:1], v2
	s_mov_b64 s[8:9], 0
.LBB3_3:                                ;   Parent Loop BB3_2 Depth=1
                                        ; =>  This Inner Loop Header: Depth=2
	s_waitcnt lgkmcnt(0)
	v_add_f64 v[4:5], v[0:1], 1.0
	ds_cmpst_rtn_b64 v[4:5], v2, v[0:1], v[4:5]
	s_waitcnt lgkmcnt(0)
	v_cmp_eq_u64_e32 vcc, v[4:5], v[0:1]
	v_mov_b32_e32 v0, v4
	s_or_b64 s[8:9], vcc, s[8:9]
	v_mov_b32_e32 v1, v5
	s_andn2_b64 exec, exec, s[8:9]
	s_cbranch_execnz .LBB3_3
; %bb.4:                                ;   in Loop: Header=BB3_2 Depth=1
	s_or_b64 exec, exec, s[8:9]
	v_add_u32_e32 v3, s11, v3
	v_cmp_le_u32_e32 vcc, s10, v3
	s_or_b64 s[2:3], vcc, s[2:3]
	s_andn2_b64 exec, exec, s[2:3]
	s_cbranch_execnz .LBB3_2
.LBB3_5:
	s_or_b64 exec, exec, s[0:1]
	s_cmp_eq_u32 s6, s7
	s_cbranch_scc0 .LBB3_7
; %bb.6:
	s_load_dwordx2 s[0:1], s[4:5], 0x0
	ds_read_b64 v[0:1], v2
	s_waitcnt lgkmcnt(0)
	global_store_dwordx2 v2, v[0:1], s[0:1]
.LBB3_7:
	s_endpgm
	.section	.rodata,"a",@progbits
	.p2align	6, 0x0
	.amdhsa_kernel _Z27BlockRangeAtomicOnSharedMemIdEvPT_i
		.amdhsa_group_segment_fixed_size 2048
		.amdhsa_private_segment_fixed_size 0
		.amdhsa_kernarg_size 272
		.amdhsa_user_sgpr_count 6
		.amdhsa_user_sgpr_private_segment_buffer 1
		.amdhsa_user_sgpr_dispatch_ptr 0
		.amdhsa_user_sgpr_queue_ptr 0
		.amdhsa_user_sgpr_kernarg_segment_ptr 1
		.amdhsa_user_sgpr_dispatch_id 0
		.amdhsa_user_sgpr_flat_scratch_init 0
		.amdhsa_user_sgpr_private_segment_size 0
		.amdhsa_uses_dynamic_stack 0
		.amdhsa_system_sgpr_private_segment_wavefront_offset 0
		.amdhsa_system_sgpr_workgroup_id_x 1
		.amdhsa_system_sgpr_workgroup_id_y 0
		.amdhsa_system_sgpr_workgroup_id_z 0
		.amdhsa_system_sgpr_workgroup_info 0
		.amdhsa_system_vgpr_workitem_id 0
		.amdhsa_next_free_vgpr 29
		.amdhsa_next_free_sgpr 61
		.amdhsa_reserve_vcc 1
		.amdhsa_reserve_flat_scratch 0
		.amdhsa_float_round_mode_32 0
		.amdhsa_float_round_mode_16_64 0
		.amdhsa_float_denorm_mode_32 3
		.amdhsa_float_denorm_mode_16_64 3
		.amdhsa_dx10_clamp 1
		.amdhsa_ieee_mode 1
		.amdhsa_fp16_overflow 0
		.amdhsa_exception_fp_ieee_invalid_op 0
		.amdhsa_exception_fp_denorm_src 0
		.amdhsa_exception_fp_ieee_div_zero 0
		.amdhsa_exception_fp_ieee_overflow 0
		.amdhsa_exception_fp_ieee_underflow 0
		.amdhsa_exception_fp_ieee_inexact 0
		.amdhsa_exception_int_div_zero 0
	.end_amdhsa_kernel
	.section	.text._Z27BlockRangeAtomicOnSharedMemIdEvPT_i,"axG",@progbits,_Z27BlockRangeAtomicOnSharedMemIdEvPT_i,comdat
.Lfunc_end3:
	.size	_Z27BlockRangeAtomicOnSharedMemIdEvPT_i, .Lfunc_end3-_Z27BlockRangeAtomicOnSharedMemIdEvPT_i
                                        ; -- End function
	.set _Z27BlockRangeAtomicOnSharedMemIdEvPT_i.num_vgpr, 6
	.set _Z27BlockRangeAtomicOnSharedMemIdEvPT_i.num_agpr, 0
	.set _Z27BlockRangeAtomicOnSharedMemIdEvPT_i.numbered_sgpr, 12
	.set _Z27BlockRangeAtomicOnSharedMemIdEvPT_i.num_named_barrier, 0
	.set _Z27BlockRangeAtomicOnSharedMemIdEvPT_i.private_seg_size, 0
	.set _Z27BlockRangeAtomicOnSharedMemIdEvPT_i.uses_vcc, 1
	.set _Z27BlockRangeAtomicOnSharedMemIdEvPT_i.uses_flat_scratch, 0
	.set _Z27BlockRangeAtomicOnSharedMemIdEvPT_i.has_dyn_sized_stack, 0
	.set _Z27BlockRangeAtomicOnSharedMemIdEvPT_i.has_recursion, 0
	.set _Z27BlockRangeAtomicOnSharedMemIdEvPT_i.has_indirect_call, 0
	.section	.AMDGPU.csdata,"",@progbits
; Kernel info:
; codeLenInByte = 196
; TotalNumSgprs: 16
; NumVgprs: 6
; ScratchSize: 0
; MemoryBound: 0
; FloatMode: 240
; IeeeMode: 1
; LDSByteSize: 2048 bytes/workgroup (compile time only)
; SGPRBlocks: 8
; VGPRBlocks: 7
; NumSGPRsForWavesPerEU: 65
; NumVGPRsForWavesPerEU: 29
; Occupancy: 8
; WaveLimiterHint : 0
; COMPUTE_PGM_RSRC2:SCRATCH_EN: 0
; COMPUTE_PGM_RSRC2:USER_SGPR: 6
; COMPUTE_PGM_RSRC2:TRAP_HANDLER: 0
; COMPUTE_PGM_RSRC2:TGID_X_EN: 1
; COMPUTE_PGM_RSRC2:TGID_Y_EN: 0
; COMPUTE_PGM_RSRC2:TGID_Z_EN: 0
; COMPUTE_PGM_RSRC2:TIDIG_COMP_CNT: 0
	.section	.text._Z26WarpRangeAtomicOnSharedMemIdEvPT_i,"axG",@progbits,_Z26WarpRangeAtomicOnSharedMemIdEvPT_i,comdat
	.protected	_Z26WarpRangeAtomicOnSharedMemIdEvPT_i ; -- Begin function _Z26WarpRangeAtomicOnSharedMemIdEvPT_i
	.globl	_Z26WarpRangeAtomicOnSharedMemIdEvPT_i
	.p2align	8
	.type	_Z26WarpRangeAtomicOnSharedMemIdEvPT_i,@function
_Z26WarpRangeAtomicOnSharedMemIdEvPT_i: ; @_Z26WarpRangeAtomicOnSharedMemIdEvPT_i
; %bb.0:
	s_load_dword s0, s[4:5], 0x1c
	s_load_dword s10, s[4:5], 0x8
	;; [unrolled: 1-line block ×3, first 2 shown]
	s_waitcnt lgkmcnt(0)
	s_and_b32 s2, s0, 0xffff
	s_mul_i32 s0, s6, s2
	v_add_u32_e32 v3, s0, v0
	v_cmp_gt_u32_e32 vcc, s10, v3
	s_and_saveexec_b64 s[0:1], vcc
	s_cbranch_execz .LBB4_5
; %bb.1:
	s_mul_i32 s11, s7, s2
	s_mov_b64 s[2:3], 0
.LBB4_2:                                ; =>This Loop Header: Depth=1
                                        ;     Child Loop BB4_3 Depth 2
	v_lshlrev_b32_e32 v1, 3, v3
	v_and_b32_e32 v4, 0xf8, v1
	ds_read_b64 v[1:2], v4
	s_mov_b64 s[8:9], 0
.LBB4_3:                                ;   Parent Loop BB4_2 Depth=1
                                        ; =>  This Inner Loop Header: Depth=2
	s_waitcnt lgkmcnt(0)
	v_add_f64 v[5:6], v[1:2], 1.0
	ds_cmpst_rtn_b64 v[5:6], v4, v[1:2], v[5:6]
	s_waitcnt lgkmcnt(0)
	v_cmp_eq_u64_e32 vcc, v[5:6], v[1:2]
	v_mov_b32_e32 v1, v5
	s_or_b64 s[8:9], vcc, s[8:9]
	v_mov_b32_e32 v2, v6
	s_andn2_b64 exec, exec, s[8:9]
	s_cbranch_execnz .LBB4_3
; %bb.4:                                ;   in Loop: Header=BB4_2 Depth=1
	s_or_b64 exec, exec, s[8:9]
	v_add_u32_e32 v3, s11, v3
	v_cmp_le_u32_e32 vcc, s10, v3
	s_or_b64 s[2:3], vcc, s[2:3]
	s_andn2_b64 exec, exec, s[2:3]
	s_cbranch_execnz .LBB4_2
.LBB4_5:
	s_or_b64 exec, exec, s[0:1]
	s_cmp_eq_u32 s6, s7
	s_cselect_b64 s[0:1], -1, 0
	v_cmp_gt_u32_e32 vcc, 31, v0
	s_and_b64 s[0:1], s[0:1], vcc
	s_and_saveexec_b64 s[2:3], s[0:1]
	s_cbranch_execz .LBB4_7
; %bb.6:
	v_lshlrev_b32_e32 v2, 3, v0
	s_load_dwordx2 s[0:1], s[4:5], 0x0
	ds_read_b64 v[0:1], v2
	s_waitcnt lgkmcnt(0)
	global_store_dwordx2 v2, v[0:1], s[0:1]
.LBB4_7:
	s_endpgm
	.section	.rodata,"a",@progbits
	.p2align	6, 0x0
	.amdhsa_kernel _Z26WarpRangeAtomicOnSharedMemIdEvPT_i
		.amdhsa_group_segment_fixed_size 256
		.amdhsa_private_segment_fixed_size 0
		.amdhsa_kernarg_size 272
		.amdhsa_user_sgpr_count 6
		.amdhsa_user_sgpr_private_segment_buffer 1
		.amdhsa_user_sgpr_dispatch_ptr 0
		.amdhsa_user_sgpr_queue_ptr 0
		.amdhsa_user_sgpr_kernarg_segment_ptr 1
		.amdhsa_user_sgpr_dispatch_id 0
		.amdhsa_user_sgpr_flat_scratch_init 0
		.amdhsa_user_sgpr_private_segment_size 0
		.amdhsa_uses_dynamic_stack 0
		.amdhsa_system_sgpr_private_segment_wavefront_offset 0
		.amdhsa_system_sgpr_workgroup_id_x 1
		.amdhsa_system_sgpr_workgroup_id_y 0
		.amdhsa_system_sgpr_workgroup_id_z 0
		.amdhsa_system_sgpr_workgroup_info 0
		.amdhsa_system_vgpr_workitem_id 0
		.amdhsa_next_free_vgpr 7
		.amdhsa_next_free_sgpr 12
		.amdhsa_reserve_vcc 1
		.amdhsa_reserve_flat_scratch 0
		.amdhsa_float_round_mode_32 0
		.amdhsa_float_round_mode_16_64 0
		.amdhsa_float_denorm_mode_32 3
		.amdhsa_float_denorm_mode_16_64 3
		.amdhsa_dx10_clamp 1
		.amdhsa_ieee_mode 1
		.amdhsa_fp16_overflow 0
		.amdhsa_exception_fp_ieee_invalid_op 0
		.amdhsa_exception_fp_denorm_src 0
		.amdhsa_exception_fp_ieee_div_zero 0
		.amdhsa_exception_fp_ieee_overflow 0
		.amdhsa_exception_fp_ieee_underflow 0
		.amdhsa_exception_fp_ieee_inexact 0
		.amdhsa_exception_int_div_zero 0
	.end_amdhsa_kernel
	.section	.text._Z26WarpRangeAtomicOnSharedMemIdEvPT_i,"axG",@progbits,_Z26WarpRangeAtomicOnSharedMemIdEvPT_i,comdat
.Lfunc_end4:
	.size	_Z26WarpRangeAtomicOnSharedMemIdEvPT_i, .Lfunc_end4-_Z26WarpRangeAtomicOnSharedMemIdEvPT_i
                                        ; -- End function
	.set _Z26WarpRangeAtomicOnSharedMemIdEvPT_i.num_vgpr, 7
	.set _Z26WarpRangeAtomicOnSharedMemIdEvPT_i.num_agpr, 0
	.set _Z26WarpRangeAtomicOnSharedMemIdEvPT_i.numbered_sgpr, 12
	.set _Z26WarpRangeAtomicOnSharedMemIdEvPT_i.num_named_barrier, 0
	.set _Z26WarpRangeAtomicOnSharedMemIdEvPT_i.private_seg_size, 0
	.set _Z26WarpRangeAtomicOnSharedMemIdEvPT_i.uses_vcc, 1
	.set _Z26WarpRangeAtomicOnSharedMemIdEvPT_i.uses_flat_scratch, 0
	.set _Z26WarpRangeAtomicOnSharedMemIdEvPT_i.has_dyn_sized_stack, 0
	.set _Z26WarpRangeAtomicOnSharedMemIdEvPT_i.has_recursion, 0
	.set _Z26WarpRangeAtomicOnSharedMemIdEvPT_i.has_indirect_call, 0
	.section	.AMDGPU.csdata,"",@progbits
; Kernel info:
; codeLenInByte = 224
; TotalNumSgprs: 16
; NumVgprs: 7
; ScratchSize: 0
; MemoryBound: 0
; FloatMode: 240
; IeeeMode: 1
; LDSByteSize: 256 bytes/workgroup (compile time only)
; SGPRBlocks: 1
; VGPRBlocks: 1
; NumSGPRsForWavesPerEU: 16
; NumVGPRsForWavesPerEU: 7
; Occupancy: 10
; WaveLimiterHint : 0
; COMPUTE_PGM_RSRC2:SCRATCH_EN: 0
; COMPUTE_PGM_RSRC2:USER_SGPR: 6
; COMPUTE_PGM_RSRC2:TRAP_HANDLER: 0
; COMPUTE_PGM_RSRC2:TGID_X_EN: 1
; COMPUTE_PGM_RSRC2:TGID_Y_EN: 0
; COMPUTE_PGM_RSRC2:TGID_Z_EN: 0
; COMPUTE_PGM_RSRC2:TIDIG_COMP_CNT: 0
	.section	.text._Z28SingleRangeAtomicOnSharedMemIdEvPT_ii,"axG",@progbits,_Z28SingleRangeAtomicOnSharedMemIdEvPT_ii,comdat
	.protected	_Z28SingleRangeAtomicOnSharedMemIdEvPT_ii ; -- Begin function _Z28SingleRangeAtomicOnSharedMemIdEvPT_ii
	.globl	_Z28SingleRangeAtomicOnSharedMemIdEvPT_ii
	.p2align	8
	.type	_Z28SingleRangeAtomicOnSharedMemIdEvPT_ii,@function
_Z28SingleRangeAtomicOnSharedMemIdEvPT_ii: ; @_Z28SingleRangeAtomicOnSharedMemIdEvPT_ii
; %bb.0:
	s_load_dword s2, s[4:5], 0x1c
	s_load_dwordx2 s[0:1], s[4:5], 0x8
	s_load_dword s7, s[4:5], 0x10
	s_waitcnt lgkmcnt(0)
	s_and_b32 s8, s2, 0xffff
	s_mul_i32 s2, s6, s8
	v_add_u32_e32 v5, s2, v0
	v_cmp_gt_u32_e32 vcc, s1, v5
	s_and_saveexec_b64 s[2:3], vcc
	s_cbranch_execz .LBB5_6
; %bb.1:
	s_lshl_b32 s0, s0, 3
	s_mul_i32 s14, s7, s8
	s_mov_b64 s[8:9], 0
	s_branch .LBB5_3
.LBB5_2:                                ;   in Loop: Header=BB5_3 Depth=1
	s_or_b64 exec, exec, s[10:11]
	v_add_u32_e32 v5, s14, v5
	v_cmp_le_u32_e32 vcc, s1, v5
	s_or_b64 s[8:9], vcc, s[8:9]
	s_andn2_b64 exec, exec, s[8:9]
	s_cbranch_execz .LBB5_6
.LBB5_3:                                ; =>This Loop Header: Depth=1
                                        ;     Child Loop BB5_5 Depth 2
	s_mov_b64 s[12:13], exec
	v_mbcnt_lo_u32_b32 v1, s12, 0
	v_mbcnt_hi_u32_b32 v1, s13, v1
	v_cmp_eq_u32_e32 vcc, 0, v1
	s_and_saveexec_b64 s[10:11], vcc
	s_cbranch_execz .LBB5_2
; %bb.4:                                ;   in Loop: Header=BB5_3 Depth=1
	v_mov_b32_e32 v1, s0
	s_bcnt1_i32_b64 s12, s[12:13]
	ds_read_b64 v[3:4], v1
	v_cvt_f64_u32_e32 v[1:2], s12
	s_mov_b64 s[12:13], 0
.LBB5_5:                                ;   Parent Loop BB5_3 Depth=1
                                        ; =>  This Inner Loop Header: Depth=2
	s_waitcnt lgkmcnt(0)
	v_add_f64 v[6:7], v[3:4], v[1:2]
	v_mov_b32_e32 v8, s0
	ds_cmpst_rtn_b64 v[6:7], v8, v[3:4], v[6:7]
	s_waitcnt lgkmcnt(0)
	v_cmp_eq_u64_e32 vcc, v[6:7], v[3:4]
	v_mov_b32_e32 v3, v6
	s_or_b64 s[12:13], vcc, s[12:13]
	v_mov_b32_e32 v4, v7
	s_andn2_b64 exec, exec, s[12:13]
	s_cbranch_execnz .LBB5_5
	s_branch .LBB5_2
.LBB5_6:
	s_or_b64 exec, exec, s[2:3]
	s_cmp_eq_u32 s6, s7
	s_cselect_b64 s[0:1], -1, 0
	v_cmp_eq_u32_e32 vcc, 0, v0
	s_and_b64 s[0:1], vcc, s[0:1]
	s_and_saveexec_b64 s[2:3], s[0:1]
	s_cbranch_execz .LBB5_8
; %bb.7:
	v_mov_b32_e32 v2, 0
	s_load_dwordx2 s[0:1], s[4:5], 0x0
	ds_read_b64 v[0:1], v2
	s_waitcnt lgkmcnt(0)
	global_store_dwordx2 v2, v[0:1], s[0:1]
.LBB5_8:
	s_endpgm
	.section	.rodata,"a",@progbits
	.p2align	6, 0x0
	.amdhsa_kernel _Z28SingleRangeAtomicOnSharedMemIdEvPT_ii
		.amdhsa_group_segment_fixed_size 2048
		.amdhsa_private_segment_fixed_size 0
		.amdhsa_kernarg_size 272
		.amdhsa_user_sgpr_count 6
		.amdhsa_user_sgpr_private_segment_buffer 1
		.amdhsa_user_sgpr_dispatch_ptr 0
		.amdhsa_user_sgpr_queue_ptr 0
		.amdhsa_user_sgpr_kernarg_segment_ptr 1
		.amdhsa_user_sgpr_dispatch_id 0
		.amdhsa_user_sgpr_flat_scratch_init 0
		.amdhsa_user_sgpr_private_segment_size 0
		.amdhsa_uses_dynamic_stack 0
		.amdhsa_system_sgpr_private_segment_wavefront_offset 0
		.amdhsa_system_sgpr_workgroup_id_x 1
		.amdhsa_system_sgpr_workgroup_id_y 0
		.amdhsa_system_sgpr_workgroup_id_z 0
		.amdhsa_system_sgpr_workgroup_info 0
		.amdhsa_system_vgpr_workitem_id 0
		.amdhsa_next_free_vgpr 29
		.amdhsa_next_free_sgpr 61
		.amdhsa_reserve_vcc 1
		.amdhsa_reserve_flat_scratch 0
		.amdhsa_float_round_mode_32 0
		.amdhsa_float_round_mode_16_64 0
		.amdhsa_float_denorm_mode_32 3
		.amdhsa_float_denorm_mode_16_64 3
		.amdhsa_dx10_clamp 1
		.amdhsa_ieee_mode 1
		.amdhsa_fp16_overflow 0
		.amdhsa_exception_fp_ieee_invalid_op 0
		.amdhsa_exception_fp_denorm_src 0
		.amdhsa_exception_fp_ieee_div_zero 0
		.amdhsa_exception_fp_ieee_overflow 0
		.amdhsa_exception_fp_ieee_underflow 0
		.amdhsa_exception_fp_ieee_inexact 0
		.amdhsa_exception_int_div_zero 0
	.end_amdhsa_kernel
	.section	.text._Z28SingleRangeAtomicOnSharedMemIdEvPT_ii,"axG",@progbits,_Z28SingleRangeAtomicOnSharedMemIdEvPT_ii,comdat
.Lfunc_end5:
	.size	_Z28SingleRangeAtomicOnSharedMemIdEvPT_ii, .Lfunc_end5-_Z28SingleRangeAtomicOnSharedMemIdEvPT_ii
                                        ; -- End function
	.set _Z28SingleRangeAtomicOnSharedMemIdEvPT_ii.num_vgpr, 9
	.set _Z28SingleRangeAtomicOnSharedMemIdEvPT_ii.num_agpr, 0
	.set _Z28SingleRangeAtomicOnSharedMemIdEvPT_ii.numbered_sgpr, 15
	.set _Z28SingleRangeAtomicOnSharedMemIdEvPT_ii.num_named_barrier, 0
	.set _Z28SingleRangeAtomicOnSharedMemIdEvPT_ii.private_seg_size, 0
	.set _Z28SingleRangeAtomicOnSharedMemIdEvPT_ii.uses_vcc, 1
	.set _Z28SingleRangeAtomicOnSharedMemIdEvPT_ii.uses_flat_scratch, 0
	.set _Z28SingleRangeAtomicOnSharedMemIdEvPT_ii.has_dyn_sized_stack, 0
	.set _Z28SingleRangeAtomicOnSharedMemIdEvPT_ii.has_recursion, 0
	.set _Z28SingleRangeAtomicOnSharedMemIdEvPT_ii.has_indirect_call, 0
	.section	.AMDGPU.csdata,"",@progbits
; Kernel info:
; codeLenInByte = 272
; TotalNumSgprs: 19
; NumVgprs: 9
; ScratchSize: 0
; MemoryBound: 0
; FloatMode: 240
; IeeeMode: 1
; LDSByteSize: 2048 bytes/workgroup (compile time only)
; SGPRBlocks: 8
; VGPRBlocks: 7
; NumSGPRsForWavesPerEU: 65
; NumVGPRsForWavesPerEU: 29
; Occupancy: 8
; WaveLimiterHint : 0
; COMPUTE_PGM_RSRC2:SCRATCH_EN: 0
; COMPUTE_PGM_RSRC2:USER_SGPR: 6
; COMPUTE_PGM_RSRC2:TRAP_HANDLER: 0
; COMPUTE_PGM_RSRC2:TGID_X_EN: 1
; COMPUTE_PGM_RSRC2:TGID_Y_EN: 0
; COMPUTE_PGM_RSRC2:TGID_Z_EN: 0
; COMPUTE_PGM_RSRC2:TIDIG_COMP_CNT: 0
	.section	.text._Z27BlockRangeAtomicOnGlobalMemIiEvPT_i,"axG",@progbits,_Z27BlockRangeAtomicOnGlobalMemIiEvPT_i,comdat
	.protected	_Z27BlockRangeAtomicOnGlobalMemIiEvPT_i ; -- Begin function _Z27BlockRangeAtomicOnGlobalMemIiEvPT_i
	.globl	_Z27BlockRangeAtomicOnGlobalMemIiEvPT_i
	.p2align	8
	.type	_Z27BlockRangeAtomicOnGlobalMemIiEvPT_i,@function
_Z27BlockRangeAtomicOnGlobalMemIiEvPT_i: ; @_Z27BlockRangeAtomicOnGlobalMemIiEvPT_i
; %bb.0:
	s_load_dword s3, s[4:5], 0x1c
	s_load_dword s2, s[4:5], 0x8
	s_add_u32 s0, s4, 16
	s_addc_u32 s1, s5, 0
	s_waitcnt lgkmcnt(0)
	s_and_b32 s3, s3, 0xffff
	s_mul_i32 s6, s6, s3
	v_add_u32_e32 v2, s6, v0
	v_cmp_gt_u32_e32 vcc, s2, v2
	s_and_saveexec_b64 s[6:7], vcc
	s_cbranch_execz .LBB6_3
; %bb.1:
	s_load_dwordx2 s[6:7], s[4:5], 0x0
	s_load_dword s8, s[0:1], 0x0
	v_lshlrev_b32_e32 v0, 2, v0
	s_mov_b64 s[0:1], 0
	v_mov_b32_e32 v3, 1
	s_waitcnt lgkmcnt(0)
	v_mov_b32_e32 v1, s7
	v_add_co_u32_e32 v0, vcc, s6, v0
	v_addc_co_u32_e32 v1, vcc, 0, v1, vcc
	s_mul_i32 s3, s8, s3
.LBB6_2:                                ; =>This Inner Loop Header: Depth=1
	global_atomic_add v[0:1], v3, off
	v_add_u32_e32 v2, s3, v2
	v_cmp_le_u32_e32 vcc, s2, v2
	s_or_b64 s[0:1], vcc, s[0:1]
	s_andn2_b64 exec, exec, s[0:1]
	s_cbranch_execnz .LBB6_2
.LBB6_3:
	s_endpgm
	.section	.rodata,"a",@progbits
	.p2align	6, 0x0
	.amdhsa_kernel _Z27BlockRangeAtomicOnGlobalMemIiEvPT_i
		.amdhsa_group_segment_fixed_size 0
		.amdhsa_private_segment_fixed_size 0
		.amdhsa_kernarg_size 272
		.amdhsa_user_sgpr_count 6
		.amdhsa_user_sgpr_private_segment_buffer 1
		.amdhsa_user_sgpr_dispatch_ptr 0
		.amdhsa_user_sgpr_queue_ptr 0
		.amdhsa_user_sgpr_kernarg_segment_ptr 1
		.amdhsa_user_sgpr_dispatch_id 0
		.amdhsa_user_sgpr_flat_scratch_init 0
		.amdhsa_user_sgpr_private_segment_size 0
		.amdhsa_uses_dynamic_stack 0
		.amdhsa_system_sgpr_private_segment_wavefront_offset 0
		.amdhsa_system_sgpr_workgroup_id_x 1
		.amdhsa_system_sgpr_workgroup_id_y 0
		.amdhsa_system_sgpr_workgroup_id_z 0
		.amdhsa_system_sgpr_workgroup_info 0
		.amdhsa_system_vgpr_workitem_id 0
		.amdhsa_next_free_vgpr 4
		.amdhsa_next_free_sgpr 9
		.amdhsa_reserve_vcc 1
		.amdhsa_reserve_flat_scratch 0
		.amdhsa_float_round_mode_32 0
		.amdhsa_float_round_mode_16_64 0
		.amdhsa_float_denorm_mode_32 3
		.amdhsa_float_denorm_mode_16_64 3
		.amdhsa_dx10_clamp 1
		.amdhsa_ieee_mode 1
		.amdhsa_fp16_overflow 0
		.amdhsa_exception_fp_ieee_invalid_op 0
		.amdhsa_exception_fp_denorm_src 0
		.amdhsa_exception_fp_ieee_div_zero 0
		.amdhsa_exception_fp_ieee_overflow 0
		.amdhsa_exception_fp_ieee_underflow 0
		.amdhsa_exception_fp_ieee_inexact 0
		.amdhsa_exception_int_div_zero 0
	.end_amdhsa_kernel
	.section	.text._Z27BlockRangeAtomicOnGlobalMemIiEvPT_i,"axG",@progbits,_Z27BlockRangeAtomicOnGlobalMemIiEvPT_i,comdat
.Lfunc_end6:
	.size	_Z27BlockRangeAtomicOnGlobalMemIiEvPT_i, .Lfunc_end6-_Z27BlockRangeAtomicOnGlobalMemIiEvPT_i
                                        ; -- End function
	.set _Z27BlockRangeAtomicOnGlobalMemIiEvPT_i.num_vgpr, 4
	.set _Z27BlockRangeAtomicOnGlobalMemIiEvPT_i.num_agpr, 0
	.set _Z27BlockRangeAtomicOnGlobalMemIiEvPT_i.numbered_sgpr, 9
	.set _Z27BlockRangeAtomicOnGlobalMemIiEvPT_i.num_named_barrier, 0
	.set _Z27BlockRangeAtomicOnGlobalMemIiEvPT_i.private_seg_size, 0
	.set _Z27BlockRangeAtomicOnGlobalMemIiEvPT_i.uses_vcc, 1
	.set _Z27BlockRangeAtomicOnGlobalMemIiEvPT_i.uses_flat_scratch, 0
	.set _Z27BlockRangeAtomicOnGlobalMemIiEvPT_i.has_dyn_sized_stack, 0
	.set _Z27BlockRangeAtomicOnGlobalMemIiEvPT_i.has_recursion, 0
	.set _Z27BlockRangeAtomicOnGlobalMemIiEvPT_i.has_indirect_call, 0
	.section	.AMDGPU.csdata,"",@progbits
; Kernel info:
; codeLenInByte = 136
; TotalNumSgprs: 13
; NumVgprs: 4
; ScratchSize: 0
; MemoryBound: 0
; FloatMode: 240
; IeeeMode: 1
; LDSByteSize: 0 bytes/workgroup (compile time only)
; SGPRBlocks: 1
; VGPRBlocks: 0
; NumSGPRsForWavesPerEU: 13
; NumVGPRsForWavesPerEU: 4
; Occupancy: 10
; WaveLimiterHint : 0
; COMPUTE_PGM_RSRC2:SCRATCH_EN: 0
; COMPUTE_PGM_RSRC2:USER_SGPR: 6
; COMPUTE_PGM_RSRC2:TRAP_HANDLER: 0
; COMPUTE_PGM_RSRC2:TGID_X_EN: 1
; COMPUTE_PGM_RSRC2:TGID_Y_EN: 0
; COMPUTE_PGM_RSRC2:TGID_Z_EN: 0
; COMPUTE_PGM_RSRC2:TIDIG_COMP_CNT: 0
	.section	.text._Z26WarpRangeAtomicOnGlobalMemIiEvPT_i,"axG",@progbits,_Z26WarpRangeAtomicOnGlobalMemIiEvPT_i,comdat
	.protected	_Z26WarpRangeAtomicOnGlobalMemIiEvPT_i ; -- Begin function _Z26WarpRangeAtomicOnGlobalMemIiEvPT_i
	.globl	_Z26WarpRangeAtomicOnGlobalMemIiEvPT_i
	.p2align	8
	.type	_Z26WarpRangeAtomicOnGlobalMemIiEvPT_i,@function
_Z26WarpRangeAtomicOnGlobalMemIiEvPT_i: ; @_Z26WarpRangeAtomicOnGlobalMemIiEvPT_i
; %bb.0:
	s_load_dword s0, s[4:5], 0x1c
	s_load_dword s7, s[4:5], 0x8
	s_add_u32 s2, s4, 16
	s_addc_u32 s3, s5, 0
	s_waitcnt lgkmcnt(0)
	s_and_b32 s8, s0, 0xffff
	s_mul_i32 s6, s6, s8
	v_add_u32_e32 v0, s6, v0
	v_cmp_gt_u32_e32 vcc, s7, v0
	s_and_saveexec_b64 s[0:1], vcc
	s_cbranch_execz .LBB7_3
; %bb.1:
	s_load_dword s6, s[2:3], 0x0
	s_load_dwordx2 s[0:1], s[4:5], 0x0
	s_mov_b64 s[2:3], 0
	v_mov_b32_e32 v1, 1
	s_waitcnt lgkmcnt(0)
	s_mul_i32 s4, s6, s8
.LBB7_2:                                ; =>This Inner Loop Header: Depth=1
	v_and_b32_e32 v2, 31, v0
	v_lshlrev_b32_e32 v2, 2, v2
	global_atomic_add v2, v1, s[0:1]
	v_add_u32_e32 v0, s4, v0
	v_cmp_le_u32_e32 vcc, s7, v0
	s_or_b64 s[2:3], vcc, s[2:3]
	s_andn2_b64 exec, exec, s[2:3]
	s_cbranch_execnz .LBB7_2
.LBB7_3:
	s_endpgm
	.section	.rodata,"a",@progbits
	.p2align	6, 0x0
	.amdhsa_kernel _Z26WarpRangeAtomicOnGlobalMemIiEvPT_i
		.amdhsa_group_segment_fixed_size 0
		.amdhsa_private_segment_fixed_size 0
		.amdhsa_kernarg_size 272
		.amdhsa_user_sgpr_count 6
		.amdhsa_user_sgpr_private_segment_buffer 1
		.amdhsa_user_sgpr_dispatch_ptr 0
		.amdhsa_user_sgpr_queue_ptr 0
		.amdhsa_user_sgpr_kernarg_segment_ptr 1
		.amdhsa_user_sgpr_dispatch_id 0
		.amdhsa_user_sgpr_flat_scratch_init 0
		.amdhsa_user_sgpr_private_segment_size 0
		.amdhsa_uses_dynamic_stack 0
		.amdhsa_system_sgpr_private_segment_wavefront_offset 0
		.amdhsa_system_sgpr_workgroup_id_x 1
		.amdhsa_system_sgpr_workgroup_id_y 0
		.amdhsa_system_sgpr_workgroup_id_z 0
		.amdhsa_system_sgpr_workgroup_info 0
		.amdhsa_system_vgpr_workitem_id 0
		.amdhsa_next_free_vgpr 3
		.amdhsa_next_free_sgpr 9
		.amdhsa_reserve_vcc 1
		.amdhsa_reserve_flat_scratch 0
		.amdhsa_float_round_mode_32 0
		.amdhsa_float_round_mode_16_64 0
		.amdhsa_float_denorm_mode_32 3
		.amdhsa_float_denorm_mode_16_64 3
		.amdhsa_dx10_clamp 1
		.amdhsa_ieee_mode 1
		.amdhsa_fp16_overflow 0
		.amdhsa_exception_fp_ieee_invalid_op 0
		.amdhsa_exception_fp_denorm_src 0
		.amdhsa_exception_fp_ieee_div_zero 0
		.amdhsa_exception_fp_ieee_overflow 0
		.amdhsa_exception_fp_ieee_underflow 0
		.amdhsa_exception_fp_ieee_inexact 0
		.amdhsa_exception_int_div_zero 0
	.end_amdhsa_kernel
	.section	.text._Z26WarpRangeAtomicOnGlobalMemIiEvPT_i,"axG",@progbits,_Z26WarpRangeAtomicOnGlobalMemIiEvPT_i,comdat
.Lfunc_end7:
	.size	_Z26WarpRangeAtomicOnGlobalMemIiEvPT_i, .Lfunc_end7-_Z26WarpRangeAtomicOnGlobalMemIiEvPT_i
                                        ; -- End function
	.set _Z26WarpRangeAtomicOnGlobalMemIiEvPT_i.num_vgpr, 3
	.set _Z26WarpRangeAtomicOnGlobalMemIiEvPT_i.num_agpr, 0
	.set _Z26WarpRangeAtomicOnGlobalMemIiEvPT_i.numbered_sgpr, 9
	.set _Z26WarpRangeAtomicOnGlobalMemIiEvPT_i.num_named_barrier, 0
	.set _Z26WarpRangeAtomicOnGlobalMemIiEvPT_i.private_seg_size, 0
	.set _Z26WarpRangeAtomicOnGlobalMemIiEvPT_i.uses_vcc, 1
	.set _Z26WarpRangeAtomicOnGlobalMemIiEvPT_i.uses_flat_scratch, 0
	.set _Z26WarpRangeAtomicOnGlobalMemIiEvPT_i.has_dyn_sized_stack, 0
	.set _Z26WarpRangeAtomicOnGlobalMemIiEvPT_i.has_recursion, 0
	.set _Z26WarpRangeAtomicOnGlobalMemIiEvPT_i.has_indirect_call, 0
	.section	.AMDGPU.csdata,"",@progbits
; Kernel info:
; codeLenInByte = 128
; TotalNumSgprs: 13
; NumVgprs: 3
; ScratchSize: 0
; MemoryBound: 0
; FloatMode: 240
; IeeeMode: 1
; LDSByteSize: 0 bytes/workgroup (compile time only)
; SGPRBlocks: 1
; VGPRBlocks: 0
; NumSGPRsForWavesPerEU: 13
; NumVGPRsForWavesPerEU: 3
; Occupancy: 10
; WaveLimiterHint : 0
; COMPUTE_PGM_RSRC2:SCRATCH_EN: 0
; COMPUTE_PGM_RSRC2:USER_SGPR: 6
; COMPUTE_PGM_RSRC2:TRAP_HANDLER: 0
; COMPUTE_PGM_RSRC2:TGID_X_EN: 1
; COMPUTE_PGM_RSRC2:TGID_Y_EN: 0
; COMPUTE_PGM_RSRC2:TGID_Z_EN: 0
; COMPUTE_PGM_RSRC2:TIDIG_COMP_CNT: 0
	.section	.text._Z28SingleRangeAtomicOnGlobalMemIiEvPT_ii,"axG",@progbits,_Z28SingleRangeAtomicOnGlobalMemIiEvPT_ii,comdat
	.protected	_Z28SingleRangeAtomicOnGlobalMemIiEvPT_ii ; -- Begin function _Z28SingleRangeAtomicOnGlobalMemIiEvPT_ii
	.globl	_Z28SingleRangeAtomicOnGlobalMemIiEvPT_ii
	.p2align	8
	.type	_Z28SingleRangeAtomicOnGlobalMemIiEvPT_ii,@function
_Z28SingleRangeAtomicOnGlobalMemIiEvPT_ii: ; @_Z28SingleRangeAtomicOnGlobalMemIiEvPT_ii
; %bb.0:
	s_load_dword s7, s[4:5], 0x1c
	s_load_dwordx2 s[0:1], s[4:5], 0x8
	s_add_u32 s2, s4, 16
	s_addc_u32 s3, s5, 0
	s_waitcnt lgkmcnt(0)
	s_and_b32 s7, s7, 0xffff
	s_mul_i32 s6, s6, s7
	v_add_u32_e32 v0, s6, v0
	v_cmp_gt_u32_e32 vcc, s1, v0
	s_and_saveexec_b64 s[8:9], vcc
	s_cbranch_execz .LBB8_5
; %bb.1:
	s_load_dwordx2 s[8:9], s[4:5], 0x0
	s_load_dword s6, s[2:3], 0x0
	s_ashr_i32 s3, s0, 31
	s_mov_b32 s2, s0
	s_lshl_b64 s[2:3], s[2:3], 2
	s_waitcnt lgkmcnt(0)
	s_add_u32 s2, s8, s2
	s_addc_u32 s3, s9, s3
	s_mul_i32 s0, s6, s7
	s_mov_b64 s[4:5], 0
	v_mov_b32_e32 v1, 0
	s_branch .LBB8_3
.LBB8_2:                                ;   in Loop: Header=BB8_3 Depth=1
	s_or_b64 exec, exec, s[6:7]
	v_add_u32_e32 v0, s0, v0
	v_cmp_le_u32_e32 vcc, s1, v0
	s_or_b64 s[4:5], vcc, s[4:5]
	s_andn2_b64 exec, exec, s[4:5]
	s_cbranch_execz .LBB8_5
.LBB8_3:                                ; =>This Inner Loop Header: Depth=1
	s_mov_b64 s[8:9], exec
	v_mbcnt_lo_u32_b32 v2, s8, 0
	v_mbcnt_hi_u32_b32 v2, s9, v2
	v_cmp_eq_u32_e32 vcc, 0, v2
	s_and_saveexec_b64 s[6:7], vcc
	s_cbranch_execz .LBB8_2
; %bb.4:                                ;   in Loop: Header=BB8_3 Depth=1
	s_bcnt1_i32_b64 s8, s[8:9]
	v_mov_b32_e32 v2, s8
	global_atomic_add v1, v2, s[2:3]
	s_branch .LBB8_2
.LBB8_5:
	s_endpgm
	.section	.rodata,"a",@progbits
	.p2align	6, 0x0
	.amdhsa_kernel _Z28SingleRangeAtomicOnGlobalMemIiEvPT_ii
		.amdhsa_group_segment_fixed_size 0
		.amdhsa_private_segment_fixed_size 0
		.amdhsa_kernarg_size 272
		.amdhsa_user_sgpr_count 6
		.amdhsa_user_sgpr_private_segment_buffer 1
		.amdhsa_user_sgpr_dispatch_ptr 0
		.amdhsa_user_sgpr_queue_ptr 0
		.amdhsa_user_sgpr_kernarg_segment_ptr 1
		.amdhsa_user_sgpr_dispatch_id 0
		.amdhsa_user_sgpr_flat_scratch_init 0
		.amdhsa_user_sgpr_private_segment_size 0
		.amdhsa_uses_dynamic_stack 0
		.amdhsa_system_sgpr_private_segment_wavefront_offset 0
		.amdhsa_system_sgpr_workgroup_id_x 1
		.amdhsa_system_sgpr_workgroup_id_y 0
		.amdhsa_system_sgpr_workgroup_id_z 0
		.amdhsa_system_sgpr_workgroup_info 0
		.amdhsa_system_vgpr_workitem_id 0
		.amdhsa_next_free_vgpr 3
		.amdhsa_next_free_sgpr 10
		.amdhsa_reserve_vcc 1
		.amdhsa_reserve_flat_scratch 0
		.amdhsa_float_round_mode_32 0
		.amdhsa_float_round_mode_16_64 0
		.amdhsa_float_denorm_mode_32 3
		.amdhsa_float_denorm_mode_16_64 3
		.amdhsa_dx10_clamp 1
		.amdhsa_ieee_mode 1
		.amdhsa_fp16_overflow 0
		.amdhsa_exception_fp_ieee_invalid_op 0
		.amdhsa_exception_fp_denorm_src 0
		.amdhsa_exception_fp_ieee_div_zero 0
		.amdhsa_exception_fp_ieee_overflow 0
		.amdhsa_exception_fp_ieee_underflow 0
		.amdhsa_exception_fp_ieee_inexact 0
		.amdhsa_exception_int_div_zero 0
	.end_amdhsa_kernel
	.section	.text._Z28SingleRangeAtomicOnGlobalMemIiEvPT_ii,"axG",@progbits,_Z28SingleRangeAtomicOnGlobalMemIiEvPT_ii,comdat
.Lfunc_end8:
	.size	_Z28SingleRangeAtomicOnGlobalMemIiEvPT_ii, .Lfunc_end8-_Z28SingleRangeAtomicOnGlobalMemIiEvPT_ii
                                        ; -- End function
	.set _Z28SingleRangeAtomicOnGlobalMemIiEvPT_ii.num_vgpr, 3
	.set _Z28SingleRangeAtomicOnGlobalMemIiEvPT_ii.num_agpr, 0
	.set _Z28SingleRangeAtomicOnGlobalMemIiEvPT_ii.numbered_sgpr, 10
	.set _Z28SingleRangeAtomicOnGlobalMemIiEvPT_ii.num_named_barrier, 0
	.set _Z28SingleRangeAtomicOnGlobalMemIiEvPT_ii.private_seg_size, 0
	.set _Z28SingleRangeAtomicOnGlobalMemIiEvPT_ii.uses_vcc, 1
	.set _Z28SingleRangeAtomicOnGlobalMemIiEvPT_ii.uses_flat_scratch, 0
	.set _Z28SingleRangeAtomicOnGlobalMemIiEvPT_ii.has_dyn_sized_stack, 0
	.set _Z28SingleRangeAtomicOnGlobalMemIiEvPT_ii.has_recursion, 0
	.set _Z28SingleRangeAtomicOnGlobalMemIiEvPT_ii.has_indirect_call, 0
	.section	.AMDGPU.csdata,"",@progbits
; Kernel info:
; codeLenInByte = 192
; TotalNumSgprs: 14
; NumVgprs: 3
; ScratchSize: 0
; MemoryBound: 0
; FloatMode: 240
; IeeeMode: 1
; LDSByteSize: 0 bytes/workgroup (compile time only)
; SGPRBlocks: 1
; VGPRBlocks: 0
; NumSGPRsForWavesPerEU: 14
; NumVGPRsForWavesPerEU: 3
; Occupancy: 10
; WaveLimiterHint : 0
; COMPUTE_PGM_RSRC2:SCRATCH_EN: 0
; COMPUTE_PGM_RSRC2:USER_SGPR: 6
; COMPUTE_PGM_RSRC2:TRAP_HANDLER: 0
; COMPUTE_PGM_RSRC2:TGID_X_EN: 1
; COMPUTE_PGM_RSRC2:TGID_Y_EN: 0
; COMPUTE_PGM_RSRC2:TGID_Z_EN: 0
; COMPUTE_PGM_RSRC2:TIDIG_COMP_CNT: 0
	.section	.text._Z27BlockRangeAtomicOnSharedMemIiEvPT_i,"axG",@progbits,_Z27BlockRangeAtomicOnSharedMemIiEvPT_i,comdat
	.protected	_Z27BlockRangeAtomicOnSharedMemIiEvPT_i ; -- Begin function _Z27BlockRangeAtomicOnSharedMemIiEvPT_i
	.globl	_Z27BlockRangeAtomicOnSharedMemIiEvPT_i
	.p2align	8
	.type	_Z27BlockRangeAtomicOnSharedMemIiEvPT_i,@function
_Z27BlockRangeAtomicOnSharedMemIiEvPT_i: ; @_Z27BlockRangeAtomicOnSharedMemIiEvPT_i
; %bb.0:
	s_load_dword s0, s[4:5], 0x1c
	s_load_dword s8, s[4:5], 0x8
	;; [unrolled: 1-line block ×3, first 2 shown]
	s_waitcnt lgkmcnt(0)
	s_and_b32 s2, s0, 0xffff
	s_mul_i32 s0, s6, s2
	v_add_u32_e32 v1, s0, v0
	v_cmp_gt_u32_e32 vcc, s8, v1
	v_lshlrev_b32_e32 v0, 2, v0
	s_and_saveexec_b64 s[0:1], vcc
	s_cbranch_execz .LBB9_3
; %bb.1:
	s_mul_i32 s9, s7, s2
	s_mov_b64 s[2:3], 0
	v_mov_b32_e32 v2, 1
.LBB9_2:                                ; =>This Inner Loop Header: Depth=1
	ds_add_u32 v0, v2
	v_add_u32_e32 v1, s9, v1
	v_cmp_le_u32_e32 vcc, s8, v1
	s_or_b64 s[2:3], vcc, s[2:3]
	s_andn2_b64 exec, exec, s[2:3]
	s_cbranch_execnz .LBB9_2
.LBB9_3:
	s_or_b64 exec, exec, s[0:1]
	s_cmp_eq_u32 s6, s7
	s_cbranch_scc0 .LBB9_5
; %bb.4:
	s_load_dwordx2 s[0:1], s[4:5], 0x0
	ds_read_b32 v1, v0
	s_waitcnt lgkmcnt(0)
	global_store_dword v0, v1, s[0:1]
.LBB9_5:
	s_endpgm
	.section	.rodata,"a",@progbits
	.p2align	6, 0x0
	.amdhsa_kernel _Z27BlockRangeAtomicOnSharedMemIiEvPT_i
		.amdhsa_group_segment_fixed_size 1024
		.amdhsa_private_segment_fixed_size 0
		.amdhsa_kernarg_size 272
		.amdhsa_user_sgpr_count 6
		.amdhsa_user_sgpr_private_segment_buffer 1
		.amdhsa_user_sgpr_dispatch_ptr 0
		.amdhsa_user_sgpr_queue_ptr 0
		.amdhsa_user_sgpr_kernarg_segment_ptr 1
		.amdhsa_user_sgpr_dispatch_id 0
		.amdhsa_user_sgpr_flat_scratch_init 0
		.amdhsa_user_sgpr_private_segment_size 0
		.amdhsa_uses_dynamic_stack 0
		.amdhsa_system_sgpr_private_segment_wavefront_offset 0
		.amdhsa_system_sgpr_workgroup_id_x 1
		.amdhsa_system_sgpr_workgroup_id_y 0
		.amdhsa_system_sgpr_workgroup_id_z 0
		.amdhsa_system_sgpr_workgroup_info 0
		.amdhsa_system_vgpr_workitem_id 0
		.amdhsa_next_free_vgpr 3
		.amdhsa_next_free_sgpr 10
		.amdhsa_reserve_vcc 1
		.amdhsa_reserve_flat_scratch 0
		.amdhsa_float_round_mode_32 0
		.amdhsa_float_round_mode_16_64 0
		.amdhsa_float_denorm_mode_32 3
		.amdhsa_float_denorm_mode_16_64 3
		.amdhsa_dx10_clamp 1
		.amdhsa_ieee_mode 1
		.amdhsa_fp16_overflow 0
		.amdhsa_exception_fp_ieee_invalid_op 0
		.amdhsa_exception_fp_denorm_src 0
		.amdhsa_exception_fp_ieee_div_zero 0
		.amdhsa_exception_fp_ieee_overflow 0
		.amdhsa_exception_fp_ieee_underflow 0
		.amdhsa_exception_fp_ieee_inexact 0
		.amdhsa_exception_int_div_zero 0
	.end_amdhsa_kernel
	.section	.text._Z27BlockRangeAtomicOnSharedMemIiEvPT_i,"axG",@progbits,_Z27BlockRangeAtomicOnSharedMemIiEvPT_i,comdat
.Lfunc_end9:
	.size	_Z27BlockRangeAtomicOnSharedMemIiEvPT_i, .Lfunc_end9-_Z27BlockRangeAtomicOnSharedMemIiEvPT_i
                                        ; -- End function
	.set _Z27BlockRangeAtomicOnSharedMemIiEvPT_i.num_vgpr, 3
	.set _Z27BlockRangeAtomicOnSharedMemIiEvPT_i.num_agpr, 0
	.set _Z27BlockRangeAtomicOnSharedMemIiEvPT_i.numbered_sgpr, 10
	.set _Z27BlockRangeAtomicOnSharedMemIiEvPT_i.num_named_barrier, 0
	.set _Z27BlockRangeAtomicOnSharedMemIiEvPT_i.private_seg_size, 0
	.set _Z27BlockRangeAtomicOnSharedMemIiEvPT_i.uses_vcc, 1
	.set _Z27BlockRangeAtomicOnSharedMemIiEvPT_i.uses_flat_scratch, 0
	.set _Z27BlockRangeAtomicOnSharedMemIiEvPT_i.has_dyn_sized_stack, 0
	.set _Z27BlockRangeAtomicOnSharedMemIiEvPT_i.has_recursion, 0
	.set _Z27BlockRangeAtomicOnSharedMemIiEvPT_i.has_indirect_call, 0
	.section	.AMDGPU.csdata,"",@progbits
; Kernel info:
; codeLenInByte = 144
; TotalNumSgprs: 14
; NumVgprs: 3
; ScratchSize: 0
; MemoryBound: 0
; FloatMode: 240
; IeeeMode: 1
; LDSByteSize: 1024 bytes/workgroup (compile time only)
; SGPRBlocks: 1
; VGPRBlocks: 0
; NumSGPRsForWavesPerEU: 14
; NumVGPRsForWavesPerEU: 3
; Occupancy: 10
; WaveLimiterHint : 0
; COMPUTE_PGM_RSRC2:SCRATCH_EN: 0
; COMPUTE_PGM_RSRC2:USER_SGPR: 6
; COMPUTE_PGM_RSRC2:TRAP_HANDLER: 0
; COMPUTE_PGM_RSRC2:TGID_X_EN: 1
; COMPUTE_PGM_RSRC2:TGID_Y_EN: 0
; COMPUTE_PGM_RSRC2:TGID_Z_EN: 0
; COMPUTE_PGM_RSRC2:TIDIG_COMP_CNT: 0
	.section	.text._Z26WarpRangeAtomicOnSharedMemIiEvPT_i,"axG",@progbits,_Z26WarpRangeAtomicOnSharedMemIiEvPT_i,comdat
	.protected	_Z26WarpRangeAtomicOnSharedMemIiEvPT_i ; -- Begin function _Z26WarpRangeAtomicOnSharedMemIiEvPT_i
	.globl	_Z26WarpRangeAtomicOnSharedMemIiEvPT_i
	.p2align	8
	.type	_Z26WarpRangeAtomicOnSharedMemIiEvPT_i,@function
_Z26WarpRangeAtomicOnSharedMemIiEvPT_i: ; @_Z26WarpRangeAtomicOnSharedMemIiEvPT_i
; %bb.0:
	s_load_dword s0, s[4:5], 0x1c
	s_load_dword s8, s[4:5], 0x8
	;; [unrolled: 1-line block ×3, first 2 shown]
	s_waitcnt lgkmcnt(0)
	s_and_b32 s2, s0, 0xffff
	s_mul_i32 s0, s6, s2
	v_add_u32_e32 v1, s0, v0
	v_cmp_gt_u32_e32 vcc, s8, v1
	s_and_saveexec_b64 s[0:1], vcc
	s_cbranch_execz .LBB10_3
; %bb.1:
	s_mul_i32 s9, s7, s2
	s_mov_b64 s[2:3], 0
	v_mov_b32_e32 v2, 1
.LBB10_2:                               ; =>This Inner Loop Header: Depth=1
	v_and_b32_e32 v3, 31, v1
	v_lshlrev_b32_e32 v3, 2, v3
	ds_add_u32 v3, v2
	v_add_u32_e32 v1, s9, v1
	v_cmp_le_u32_e32 vcc, s8, v1
	s_or_b64 s[2:3], vcc, s[2:3]
	s_andn2_b64 exec, exec, s[2:3]
	s_cbranch_execnz .LBB10_2
.LBB10_3:
	s_or_b64 exec, exec, s[0:1]
	s_cmp_eq_u32 s6, s7
	s_cselect_b64 s[0:1], -1, 0
	v_cmp_gt_u32_e32 vcc, 31, v0
	s_and_b64 s[0:1], s[0:1], vcc
	s_and_saveexec_b64 s[2:3], s[0:1]
	s_cbranch_execz .LBB10_5
; %bb.4:
	v_lshlrev_b32_e32 v0, 2, v0
	s_load_dwordx2 s[0:1], s[4:5], 0x0
	ds_read_b32 v1, v0
	s_waitcnt lgkmcnt(0)
	global_store_dword v0, v1, s[0:1]
.LBB10_5:
	s_endpgm
	.section	.rodata,"a",@progbits
	.p2align	6, 0x0
	.amdhsa_kernel _Z26WarpRangeAtomicOnSharedMemIiEvPT_i
		.amdhsa_group_segment_fixed_size 128
		.amdhsa_private_segment_fixed_size 0
		.amdhsa_kernarg_size 272
		.amdhsa_user_sgpr_count 6
		.amdhsa_user_sgpr_private_segment_buffer 1
		.amdhsa_user_sgpr_dispatch_ptr 0
		.amdhsa_user_sgpr_queue_ptr 0
		.amdhsa_user_sgpr_kernarg_segment_ptr 1
		.amdhsa_user_sgpr_dispatch_id 0
		.amdhsa_user_sgpr_flat_scratch_init 0
		.amdhsa_user_sgpr_private_segment_size 0
		.amdhsa_uses_dynamic_stack 0
		.amdhsa_system_sgpr_private_segment_wavefront_offset 0
		.amdhsa_system_sgpr_workgroup_id_x 1
		.amdhsa_system_sgpr_workgroup_id_y 0
		.amdhsa_system_sgpr_workgroup_id_z 0
		.amdhsa_system_sgpr_workgroup_info 0
		.amdhsa_system_vgpr_workitem_id 0
		.amdhsa_next_free_vgpr 4
		.amdhsa_next_free_sgpr 10
		.amdhsa_reserve_vcc 1
		.amdhsa_reserve_flat_scratch 0
		.amdhsa_float_round_mode_32 0
		.amdhsa_float_round_mode_16_64 0
		.amdhsa_float_denorm_mode_32 3
		.amdhsa_float_denorm_mode_16_64 3
		.amdhsa_dx10_clamp 1
		.amdhsa_ieee_mode 1
		.amdhsa_fp16_overflow 0
		.amdhsa_exception_fp_ieee_invalid_op 0
		.amdhsa_exception_fp_denorm_src 0
		.amdhsa_exception_fp_ieee_div_zero 0
		.amdhsa_exception_fp_ieee_overflow 0
		.amdhsa_exception_fp_ieee_underflow 0
		.amdhsa_exception_fp_ieee_inexact 0
		.amdhsa_exception_int_div_zero 0
	.end_amdhsa_kernel
	.section	.text._Z26WarpRangeAtomicOnSharedMemIiEvPT_i,"axG",@progbits,_Z26WarpRangeAtomicOnSharedMemIiEvPT_i,comdat
.Lfunc_end10:
	.size	_Z26WarpRangeAtomicOnSharedMemIiEvPT_i, .Lfunc_end10-_Z26WarpRangeAtomicOnSharedMemIiEvPT_i
                                        ; -- End function
	.set _Z26WarpRangeAtomicOnSharedMemIiEvPT_i.num_vgpr, 4
	.set _Z26WarpRangeAtomicOnSharedMemIiEvPT_i.num_agpr, 0
	.set _Z26WarpRangeAtomicOnSharedMemIiEvPT_i.numbered_sgpr, 10
	.set _Z26WarpRangeAtomicOnSharedMemIiEvPT_i.num_named_barrier, 0
	.set _Z26WarpRangeAtomicOnSharedMemIiEvPT_i.private_seg_size, 0
	.set _Z26WarpRangeAtomicOnSharedMemIiEvPT_i.uses_vcc, 1
	.set _Z26WarpRangeAtomicOnSharedMemIiEvPT_i.uses_flat_scratch, 0
	.set _Z26WarpRangeAtomicOnSharedMemIiEvPT_i.has_dyn_sized_stack, 0
	.set _Z26WarpRangeAtomicOnSharedMemIiEvPT_i.has_recursion, 0
	.set _Z26WarpRangeAtomicOnSharedMemIiEvPT_i.has_indirect_call, 0
	.section	.AMDGPU.csdata,"",@progbits
; Kernel info:
; codeLenInByte = 168
; TotalNumSgprs: 14
; NumVgprs: 4
; ScratchSize: 0
; MemoryBound: 0
; FloatMode: 240
; IeeeMode: 1
; LDSByteSize: 128 bytes/workgroup (compile time only)
; SGPRBlocks: 1
; VGPRBlocks: 0
; NumSGPRsForWavesPerEU: 14
; NumVGPRsForWavesPerEU: 4
; Occupancy: 10
; WaveLimiterHint : 0
; COMPUTE_PGM_RSRC2:SCRATCH_EN: 0
; COMPUTE_PGM_RSRC2:USER_SGPR: 6
; COMPUTE_PGM_RSRC2:TRAP_HANDLER: 0
; COMPUTE_PGM_RSRC2:TGID_X_EN: 1
; COMPUTE_PGM_RSRC2:TGID_Y_EN: 0
; COMPUTE_PGM_RSRC2:TGID_Z_EN: 0
; COMPUTE_PGM_RSRC2:TIDIG_COMP_CNT: 0
	.section	.text._Z28SingleRangeAtomicOnSharedMemIiEvPT_ii,"axG",@progbits,_Z28SingleRangeAtomicOnSharedMemIiEvPT_ii,comdat
	.protected	_Z28SingleRangeAtomicOnSharedMemIiEvPT_ii ; -- Begin function _Z28SingleRangeAtomicOnSharedMemIiEvPT_ii
	.globl	_Z28SingleRangeAtomicOnSharedMemIiEvPT_ii
	.p2align	8
	.type	_Z28SingleRangeAtomicOnSharedMemIiEvPT_ii,@function
_Z28SingleRangeAtomicOnSharedMemIiEvPT_ii: ; @_Z28SingleRangeAtomicOnSharedMemIiEvPT_ii
; %bb.0:
	s_load_dword s2, s[4:5], 0x1c
	s_load_dwordx2 s[0:1], s[4:5], 0x8
	s_load_dword s7, s[4:5], 0x10
	s_waitcnt lgkmcnt(0)
	s_and_b32 s8, s2, 0xffff
	s_mul_i32 s2, s6, s8
	v_add_u32_e32 v1, s2, v0
	v_cmp_gt_u32_e32 vcc, s1, v1
	s_and_saveexec_b64 s[2:3], vcc
	s_cbranch_execz .LBB11_5
; %bb.1:
	s_lshl_b32 s0, s0, 2
	s_mul_i32 s14, s7, s8
	s_mov_b64 s[8:9], 0
	s_branch .LBB11_3
.LBB11_2:                               ;   in Loop: Header=BB11_3 Depth=1
	s_or_b64 exec, exec, s[10:11]
	v_add_u32_e32 v1, s14, v1
	v_cmp_le_u32_e32 vcc, s1, v1
	s_or_b64 s[8:9], vcc, s[8:9]
	s_andn2_b64 exec, exec, s[8:9]
	s_cbranch_execz .LBB11_5
.LBB11_3:                               ; =>This Inner Loop Header: Depth=1
	s_mov_b64 s[12:13], exec
	v_mbcnt_lo_u32_b32 v2, s12, 0
	v_mbcnt_hi_u32_b32 v2, s13, v2
	v_cmp_eq_u32_e32 vcc, 0, v2
	s_and_saveexec_b64 s[10:11], vcc
	s_cbranch_execz .LBB11_2
; %bb.4:                                ;   in Loop: Header=BB11_3 Depth=1
	s_bcnt1_i32_b64 s12, s[12:13]
	v_mov_b32_e32 v2, s0
	v_mov_b32_e32 v3, s12
	ds_add_u32 v2, v3
	s_branch .LBB11_2
.LBB11_5:
	s_or_b64 exec, exec, s[2:3]
	s_cmp_eq_u32 s6, s7
	s_cselect_b64 s[0:1], -1, 0
	v_cmp_eq_u32_e32 vcc, 0, v0
	s_and_b64 s[0:1], vcc, s[0:1]
	s_and_saveexec_b64 s[2:3], s[0:1]
	s_cbranch_execz .LBB11_7
; %bb.6:
	v_mov_b32_e32 v0, 0
	s_load_dwordx2 s[0:1], s[4:5], 0x0
	ds_read_b32 v1, v0
	s_waitcnt lgkmcnt(0)
	global_store_dword v0, v1, s[0:1]
.LBB11_7:
	s_endpgm
	.section	.rodata,"a",@progbits
	.p2align	6, 0x0
	.amdhsa_kernel _Z28SingleRangeAtomicOnSharedMemIiEvPT_ii
		.amdhsa_group_segment_fixed_size 1024
		.amdhsa_private_segment_fixed_size 0
		.amdhsa_kernarg_size 272
		.amdhsa_user_sgpr_count 6
		.amdhsa_user_sgpr_private_segment_buffer 1
		.amdhsa_user_sgpr_dispatch_ptr 0
		.amdhsa_user_sgpr_queue_ptr 0
		.amdhsa_user_sgpr_kernarg_segment_ptr 1
		.amdhsa_user_sgpr_dispatch_id 0
		.amdhsa_user_sgpr_flat_scratch_init 0
		.amdhsa_user_sgpr_private_segment_size 0
		.amdhsa_uses_dynamic_stack 0
		.amdhsa_system_sgpr_private_segment_wavefront_offset 0
		.amdhsa_system_sgpr_workgroup_id_x 1
		.amdhsa_system_sgpr_workgroup_id_y 0
		.amdhsa_system_sgpr_workgroup_id_z 0
		.amdhsa_system_sgpr_workgroup_info 0
		.amdhsa_system_vgpr_workitem_id 0
		.amdhsa_next_free_vgpr 4
		.amdhsa_next_free_sgpr 15
		.amdhsa_reserve_vcc 1
		.amdhsa_reserve_flat_scratch 0
		.amdhsa_float_round_mode_32 0
		.amdhsa_float_round_mode_16_64 0
		.amdhsa_float_denorm_mode_32 3
		.amdhsa_float_denorm_mode_16_64 3
		.amdhsa_dx10_clamp 1
		.amdhsa_ieee_mode 1
		.amdhsa_fp16_overflow 0
		.amdhsa_exception_fp_ieee_invalid_op 0
		.amdhsa_exception_fp_denorm_src 0
		.amdhsa_exception_fp_ieee_div_zero 0
		.amdhsa_exception_fp_ieee_overflow 0
		.amdhsa_exception_fp_ieee_underflow 0
		.amdhsa_exception_fp_ieee_inexact 0
		.amdhsa_exception_int_div_zero 0
	.end_amdhsa_kernel
	.section	.text._Z28SingleRangeAtomicOnSharedMemIiEvPT_ii,"axG",@progbits,_Z28SingleRangeAtomicOnSharedMemIiEvPT_ii,comdat
.Lfunc_end11:
	.size	_Z28SingleRangeAtomicOnSharedMemIiEvPT_ii, .Lfunc_end11-_Z28SingleRangeAtomicOnSharedMemIiEvPT_ii
                                        ; -- End function
	.set _Z28SingleRangeAtomicOnSharedMemIiEvPT_ii.num_vgpr, 4
	.set _Z28SingleRangeAtomicOnSharedMemIiEvPT_ii.num_agpr, 0
	.set _Z28SingleRangeAtomicOnSharedMemIiEvPT_ii.numbered_sgpr, 15
	.set _Z28SingleRangeAtomicOnSharedMemIiEvPT_ii.num_named_barrier, 0
	.set _Z28SingleRangeAtomicOnSharedMemIiEvPT_ii.private_seg_size, 0
	.set _Z28SingleRangeAtomicOnSharedMemIiEvPT_ii.uses_vcc, 1
	.set _Z28SingleRangeAtomicOnSharedMemIiEvPT_ii.uses_flat_scratch, 0
	.set _Z28SingleRangeAtomicOnSharedMemIiEvPT_ii.has_dyn_sized_stack, 0
	.set _Z28SingleRangeAtomicOnSharedMemIiEvPT_ii.has_recursion, 0
	.set _Z28SingleRangeAtomicOnSharedMemIiEvPT_ii.has_indirect_call, 0
	.section	.AMDGPU.csdata,"",@progbits
; Kernel info:
; codeLenInByte = 216
; TotalNumSgprs: 19
; NumVgprs: 4
; ScratchSize: 0
; MemoryBound: 0
; FloatMode: 240
; IeeeMode: 1
; LDSByteSize: 1024 bytes/workgroup (compile time only)
; SGPRBlocks: 2
; VGPRBlocks: 0
; NumSGPRsForWavesPerEU: 19
; NumVGPRsForWavesPerEU: 4
; Occupancy: 10
; WaveLimiterHint : 0
; COMPUTE_PGM_RSRC2:SCRATCH_EN: 0
; COMPUTE_PGM_RSRC2:USER_SGPR: 6
; COMPUTE_PGM_RSRC2:TRAP_HANDLER: 0
; COMPUTE_PGM_RSRC2:TGID_X_EN: 1
; COMPUTE_PGM_RSRC2:TGID_Y_EN: 0
; COMPUTE_PGM_RSRC2:TGID_Z_EN: 0
; COMPUTE_PGM_RSRC2:TIDIG_COMP_CNT: 0
	.section	.text._Z27BlockRangeAtomicOnGlobalMemIfEvPT_i,"axG",@progbits,_Z27BlockRangeAtomicOnGlobalMemIfEvPT_i,comdat
	.protected	_Z27BlockRangeAtomicOnGlobalMemIfEvPT_i ; -- Begin function _Z27BlockRangeAtomicOnGlobalMemIfEvPT_i
	.globl	_Z27BlockRangeAtomicOnGlobalMemIfEvPT_i
	.p2align	8
	.type	_Z27BlockRangeAtomicOnGlobalMemIfEvPT_i,@function
_Z27BlockRangeAtomicOnGlobalMemIfEvPT_i: ; @_Z27BlockRangeAtomicOnGlobalMemIfEvPT_i
; %bb.0:
	s_load_dword s2, s[4:5], 0x1c
	s_load_dword s7, s[4:5], 0x8
	s_add_u32 s0, s4, 16
	s_addc_u32 s1, s5, 0
	s_waitcnt lgkmcnt(0)
	s_and_b32 s2, s2, 0xffff
	s_mul_i32 s6, s6, s2
	v_add_u32_e32 v4, s6, v0
	v_cmp_gt_u32_e32 vcc, s7, v4
	s_and_saveexec_b64 s[8:9], vcc
	s_cbranch_execz .LBB12_5
; %bb.1:
	s_load_dwordx2 s[8:9], s[4:5], 0x0
	s_load_dword s3, s[0:1], 0x0
	v_lshlrev_b32_e32 v0, 2, v0
	s_mov_b64 s[0:1], 0
	s_waitcnt lgkmcnt(0)
	v_mov_b32_e32 v1, s9
	v_add_co_u32_e32 v0, vcc, s8, v0
	v_addc_co_u32_e32 v1, vcc, 0, v1, vcc
	s_mul_i32 s4, s3, s2
.LBB12_2:                               ; =>This Loop Header: Depth=1
                                        ;     Child Loop BB12_3 Depth 2
	global_load_dword v3, v[0:1], off
	s_mov_b64 s[2:3], 0
.LBB12_3:                               ;   Parent Loop BB12_2 Depth=1
                                        ; =>  This Inner Loop Header: Depth=2
	s_waitcnt vmcnt(0)
	v_add_f32_e32 v2, 1.0, v3
	global_atomic_cmpswap v2, v[0:1], v[2:3], off glc
	s_waitcnt vmcnt(0)
	v_cmp_eq_u32_e32 vcc, v2, v3
	s_or_b64 s[2:3], vcc, s[2:3]
	v_mov_b32_e32 v3, v2
	s_andn2_b64 exec, exec, s[2:3]
	s_cbranch_execnz .LBB12_3
; %bb.4:                                ;   in Loop: Header=BB12_2 Depth=1
	s_or_b64 exec, exec, s[2:3]
	v_add_u32_e32 v4, s4, v4
	v_cmp_le_u32_e32 vcc, s7, v4
	s_or_b64 s[0:1], vcc, s[0:1]
	s_andn2_b64 exec, exec, s[0:1]
	s_cbranch_execnz .LBB12_2
.LBB12_5:
	s_endpgm
	.section	.rodata,"a",@progbits
	.p2align	6, 0x0
	.amdhsa_kernel _Z27BlockRangeAtomicOnGlobalMemIfEvPT_i
		.amdhsa_group_segment_fixed_size 0
		.amdhsa_private_segment_fixed_size 0
		.amdhsa_kernarg_size 272
		.amdhsa_user_sgpr_count 6
		.amdhsa_user_sgpr_private_segment_buffer 1
		.amdhsa_user_sgpr_dispatch_ptr 0
		.amdhsa_user_sgpr_queue_ptr 0
		.amdhsa_user_sgpr_kernarg_segment_ptr 1
		.amdhsa_user_sgpr_dispatch_id 0
		.amdhsa_user_sgpr_flat_scratch_init 0
		.amdhsa_user_sgpr_private_segment_size 0
		.amdhsa_uses_dynamic_stack 0
		.amdhsa_system_sgpr_private_segment_wavefront_offset 0
		.amdhsa_system_sgpr_workgroup_id_x 1
		.amdhsa_system_sgpr_workgroup_id_y 0
		.amdhsa_system_sgpr_workgroup_id_z 0
		.amdhsa_system_sgpr_workgroup_info 0
		.amdhsa_system_vgpr_workitem_id 0
		.amdhsa_next_free_vgpr 5
		.amdhsa_next_free_sgpr 10
		.amdhsa_reserve_vcc 1
		.amdhsa_reserve_flat_scratch 0
		.amdhsa_float_round_mode_32 0
		.amdhsa_float_round_mode_16_64 0
		.amdhsa_float_denorm_mode_32 3
		.amdhsa_float_denorm_mode_16_64 3
		.amdhsa_dx10_clamp 1
		.amdhsa_ieee_mode 1
		.amdhsa_fp16_overflow 0
		.amdhsa_exception_fp_ieee_invalid_op 0
		.amdhsa_exception_fp_denorm_src 0
		.amdhsa_exception_fp_ieee_div_zero 0
		.amdhsa_exception_fp_ieee_overflow 0
		.amdhsa_exception_fp_ieee_underflow 0
		.amdhsa_exception_fp_ieee_inexact 0
		.amdhsa_exception_int_div_zero 0
	.end_amdhsa_kernel
	.section	.text._Z27BlockRangeAtomicOnGlobalMemIfEvPT_i,"axG",@progbits,_Z27BlockRangeAtomicOnGlobalMemIfEvPT_i,comdat
.Lfunc_end12:
	.size	_Z27BlockRangeAtomicOnGlobalMemIfEvPT_i, .Lfunc_end12-_Z27BlockRangeAtomicOnGlobalMemIfEvPT_i
                                        ; -- End function
	.set _Z27BlockRangeAtomicOnGlobalMemIfEvPT_i.num_vgpr, 5
	.set _Z27BlockRangeAtomicOnGlobalMemIfEvPT_i.num_agpr, 0
	.set _Z27BlockRangeAtomicOnGlobalMemIfEvPT_i.numbered_sgpr, 10
	.set _Z27BlockRangeAtomicOnGlobalMemIfEvPT_i.num_named_barrier, 0
	.set _Z27BlockRangeAtomicOnGlobalMemIfEvPT_i.private_seg_size, 0
	.set _Z27BlockRangeAtomicOnGlobalMemIfEvPT_i.uses_vcc, 1
	.set _Z27BlockRangeAtomicOnGlobalMemIfEvPT_i.uses_flat_scratch, 0
	.set _Z27BlockRangeAtomicOnGlobalMemIfEvPT_i.has_dyn_sized_stack, 0
	.set _Z27BlockRangeAtomicOnGlobalMemIfEvPT_i.has_recursion, 0
	.set _Z27BlockRangeAtomicOnGlobalMemIfEvPT_i.has_indirect_call, 0
	.section	.AMDGPU.csdata,"",@progbits
; Kernel info:
; codeLenInByte = 180
; TotalNumSgprs: 14
; NumVgprs: 5
; ScratchSize: 0
; MemoryBound: 0
; FloatMode: 240
; IeeeMode: 1
; LDSByteSize: 0 bytes/workgroup (compile time only)
; SGPRBlocks: 1
; VGPRBlocks: 1
; NumSGPRsForWavesPerEU: 14
; NumVGPRsForWavesPerEU: 5
; Occupancy: 10
; WaveLimiterHint : 0
; COMPUTE_PGM_RSRC2:SCRATCH_EN: 0
; COMPUTE_PGM_RSRC2:USER_SGPR: 6
; COMPUTE_PGM_RSRC2:TRAP_HANDLER: 0
; COMPUTE_PGM_RSRC2:TGID_X_EN: 1
; COMPUTE_PGM_RSRC2:TGID_Y_EN: 0
; COMPUTE_PGM_RSRC2:TGID_Z_EN: 0
; COMPUTE_PGM_RSRC2:TIDIG_COMP_CNT: 0
	.section	.text._Z26WarpRangeAtomicOnGlobalMemIfEvPT_i,"axG",@progbits,_Z26WarpRangeAtomicOnGlobalMemIfEvPT_i,comdat
	.protected	_Z26WarpRangeAtomicOnGlobalMemIfEvPT_i ; -- Begin function _Z26WarpRangeAtomicOnGlobalMemIfEvPT_i
	.globl	_Z26WarpRangeAtomicOnGlobalMemIfEvPT_i
	.p2align	8
	.type	_Z26WarpRangeAtomicOnGlobalMemIfEvPT_i,@function
_Z26WarpRangeAtomicOnGlobalMemIfEvPT_i: ; @_Z26WarpRangeAtomicOnGlobalMemIfEvPT_i
; %bb.0:
	s_load_dword s0, s[4:5], 0x1c
	s_load_dword s7, s[4:5], 0x8
	s_add_u32 s2, s4, 16
	s_addc_u32 s3, s5, 0
	s_waitcnt lgkmcnt(0)
	s_and_b32 s8, s0, 0xffff
	s_mul_i32 s6, s6, s8
	v_add_u32_e32 v4, s6, v0
	v_cmp_gt_u32_e32 vcc, s7, v4
	s_and_saveexec_b64 s[0:1], vcc
	s_cbranch_execz .LBB13_5
; %bb.1:
	s_load_dword s6, s[2:3], 0x0
	s_load_dwordx2 s[0:1], s[4:5], 0x0
	s_mov_b64 s[2:3], 0
	s_waitcnt lgkmcnt(0)
	s_mul_i32 s6, s6, s8
	v_mov_b32_e32 v5, s1
.LBB13_2:                               ; =>This Loop Header: Depth=1
                                        ;     Child Loop BB13_3 Depth 2
	v_and_b32_e32 v0, 31, v4
	v_lshlrev_b32_e32 v0, 2, v0
	global_load_dword v3, v0, s[0:1]
	v_add_co_u32_e32 v0, vcc, s0, v0
	v_addc_co_u32_e32 v1, vcc, 0, v5, vcc
	s_mov_b64 s[4:5], 0
.LBB13_3:                               ;   Parent Loop BB13_2 Depth=1
                                        ; =>  This Inner Loop Header: Depth=2
	s_waitcnt vmcnt(0)
	v_add_f32_e32 v2, 1.0, v3
	global_atomic_cmpswap v2, v[0:1], v[2:3], off glc
	s_waitcnt vmcnt(0)
	v_cmp_eq_u32_e32 vcc, v2, v3
	s_or_b64 s[4:5], vcc, s[4:5]
	v_mov_b32_e32 v3, v2
	s_andn2_b64 exec, exec, s[4:5]
	s_cbranch_execnz .LBB13_3
; %bb.4:                                ;   in Loop: Header=BB13_2 Depth=1
	s_or_b64 exec, exec, s[4:5]
	v_add_u32_e32 v4, s6, v4
	v_cmp_le_u32_e32 vcc, s7, v4
	s_or_b64 s[2:3], vcc, s[2:3]
	s_andn2_b64 exec, exec, s[2:3]
	s_cbranch_execnz .LBB13_2
.LBB13_5:
	s_endpgm
	.section	.rodata,"a",@progbits
	.p2align	6, 0x0
	.amdhsa_kernel _Z26WarpRangeAtomicOnGlobalMemIfEvPT_i
		.amdhsa_group_segment_fixed_size 0
		.amdhsa_private_segment_fixed_size 0
		.amdhsa_kernarg_size 272
		.amdhsa_user_sgpr_count 6
		.amdhsa_user_sgpr_private_segment_buffer 1
		.amdhsa_user_sgpr_dispatch_ptr 0
		.amdhsa_user_sgpr_queue_ptr 0
		.amdhsa_user_sgpr_kernarg_segment_ptr 1
		.amdhsa_user_sgpr_dispatch_id 0
		.amdhsa_user_sgpr_flat_scratch_init 0
		.amdhsa_user_sgpr_private_segment_size 0
		.amdhsa_uses_dynamic_stack 0
		.amdhsa_system_sgpr_private_segment_wavefront_offset 0
		.amdhsa_system_sgpr_workgroup_id_x 1
		.amdhsa_system_sgpr_workgroup_id_y 0
		.amdhsa_system_sgpr_workgroup_id_z 0
		.amdhsa_system_sgpr_workgroup_info 0
		.amdhsa_system_vgpr_workitem_id 0
		.amdhsa_next_free_vgpr 6
		.amdhsa_next_free_sgpr 9
		.amdhsa_reserve_vcc 1
		.amdhsa_reserve_flat_scratch 0
		.amdhsa_float_round_mode_32 0
		.amdhsa_float_round_mode_16_64 0
		.amdhsa_float_denorm_mode_32 3
		.amdhsa_float_denorm_mode_16_64 3
		.amdhsa_dx10_clamp 1
		.amdhsa_ieee_mode 1
		.amdhsa_fp16_overflow 0
		.amdhsa_exception_fp_ieee_invalid_op 0
		.amdhsa_exception_fp_denorm_src 0
		.amdhsa_exception_fp_ieee_div_zero 0
		.amdhsa_exception_fp_ieee_overflow 0
		.amdhsa_exception_fp_ieee_underflow 0
		.amdhsa_exception_fp_ieee_inexact 0
		.amdhsa_exception_int_div_zero 0
	.end_amdhsa_kernel
	.section	.text._Z26WarpRangeAtomicOnGlobalMemIfEvPT_i,"axG",@progbits,_Z26WarpRangeAtomicOnGlobalMemIfEvPT_i,comdat
.Lfunc_end13:
	.size	_Z26WarpRangeAtomicOnGlobalMemIfEvPT_i, .Lfunc_end13-_Z26WarpRangeAtomicOnGlobalMemIfEvPT_i
                                        ; -- End function
	.set _Z26WarpRangeAtomicOnGlobalMemIfEvPT_i.num_vgpr, 6
	.set _Z26WarpRangeAtomicOnGlobalMemIfEvPT_i.num_agpr, 0
	.set _Z26WarpRangeAtomicOnGlobalMemIfEvPT_i.numbered_sgpr, 9
	.set _Z26WarpRangeAtomicOnGlobalMemIfEvPT_i.num_named_barrier, 0
	.set _Z26WarpRangeAtomicOnGlobalMemIfEvPT_i.private_seg_size, 0
	.set _Z26WarpRangeAtomicOnGlobalMemIfEvPT_i.uses_vcc, 1
	.set _Z26WarpRangeAtomicOnGlobalMemIfEvPT_i.uses_flat_scratch, 0
	.set _Z26WarpRangeAtomicOnGlobalMemIfEvPT_i.has_dyn_sized_stack, 0
	.set _Z26WarpRangeAtomicOnGlobalMemIfEvPT_i.has_recursion, 0
	.set _Z26WarpRangeAtomicOnGlobalMemIfEvPT_i.has_indirect_call, 0
	.section	.AMDGPU.csdata,"",@progbits
; Kernel info:
; codeLenInByte = 184
; TotalNumSgprs: 13
; NumVgprs: 6
; ScratchSize: 0
; MemoryBound: 0
; FloatMode: 240
; IeeeMode: 1
; LDSByteSize: 0 bytes/workgroup (compile time only)
; SGPRBlocks: 1
; VGPRBlocks: 1
; NumSGPRsForWavesPerEU: 13
; NumVGPRsForWavesPerEU: 6
; Occupancy: 10
; WaveLimiterHint : 0
; COMPUTE_PGM_RSRC2:SCRATCH_EN: 0
; COMPUTE_PGM_RSRC2:USER_SGPR: 6
; COMPUTE_PGM_RSRC2:TRAP_HANDLER: 0
; COMPUTE_PGM_RSRC2:TGID_X_EN: 1
; COMPUTE_PGM_RSRC2:TGID_Y_EN: 0
; COMPUTE_PGM_RSRC2:TGID_Z_EN: 0
; COMPUTE_PGM_RSRC2:TIDIG_COMP_CNT: 0
	.section	.text._Z28SingleRangeAtomicOnGlobalMemIfEvPT_ii,"axG",@progbits,_Z28SingleRangeAtomicOnGlobalMemIfEvPT_ii,comdat
	.protected	_Z28SingleRangeAtomicOnGlobalMemIfEvPT_ii ; -- Begin function _Z28SingleRangeAtomicOnGlobalMemIfEvPT_ii
	.globl	_Z28SingleRangeAtomicOnGlobalMemIfEvPT_ii
	.p2align	8
	.type	_Z28SingleRangeAtomicOnGlobalMemIfEvPT_ii,@function
_Z28SingleRangeAtomicOnGlobalMemIfEvPT_ii: ; @_Z28SingleRangeAtomicOnGlobalMemIfEvPT_ii
; %bb.0:
	s_load_dword s7, s[4:5], 0x1c
	s_load_dwordx2 s[0:1], s[4:5], 0x8
	s_add_u32 s2, s4, 16
	s_addc_u32 s3, s5, 0
	s_waitcnt lgkmcnt(0)
	s_and_b32 s7, s7, 0xffff
	s_mul_i32 s6, s6, s7
	v_add_u32_e32 v2, s6, v0
	v_cmp_gt_u32_e32 vcc, s1, v2
	s_and_saveexec_b64 s[8:9], vcc
	s_cbranch_execz .LBB14_6
; %bb.1:
	s_load_dwordx2 s[8:9], s[4:5], 0x0
	s_load_dword s6, s[2:3], 0x0
	s_ashr_i32 s3, s0, 31
	s_mov_b32 s2, s0
	s_lshl_b64 s[2:3], s[2:3], 2
	s_waitcnt lgkmcnt(0)
	s_add_u32 s2, s8, s2
	s_addc_u32 s3, s9, s3
	s_mul_i32 s0, s6, s7
	s_mov_b64 s[4:5], 0
	v_mov_b32_e32 v3, 0
	s_branch .LBB14_3
.LBB14_2:                               ;   in Loop: Header=BB14_3 Depth=1
	s_or_b64 exec, exec, s[6:7]
	v_add_u32_e32 v2, s0, v2
	v_cmp_le_u32_e32 vcc, s1, v2
	s_or_b64 s[4:5], vcc, s[4:5]
	s_andn2_b64 exec, exec, s[4:5]
	s_cbranch_execz .LBB14_6
.LBB14_3:                               ; =>This Loop Header: Depth=1
                                        ;     Child Loop BB14_5 Depth 2
	s_mov_b64 s[8:9], exec
	v_mbcnt_lo_u32_b32 v0, s8, 0
	v_mbcnt_hi_u32_b32 v0, s9, v0
	v_cmp_eq_u32_e32 vcc, 0, v0
	s_and_saveexec_b64 s[6:7], vcc
	s_cbranch_execz .LBB14_2
; %bb.4:                                ;   in Loop: Header=BB14_3 Depth=1
	global_load_dword v1, v3, s[2:3]
	s_bcnt1_i32_b64 s8, s[8:9]
	v_cvt_f32_ubyte0_e32 v4, s8
	s_mov_b64 s[8:9], 0
.LBB14_5:                               ;   Parent Loop BB14_3 Depth=1
                                        ; =>  This Inner Loop Header: Depth=2
	s_waitcnt vmcnt(0)
	v_add_f32_e32 v0, v1, v4
	global_atomic_cmpswap v0, v3, v[0:1], s[2:3] glc
	s_waitcnt vmcnt(0)
	v_cmp_eq_u32_e32 vcc, v0, v1
	s_or_b64 s[8:9], vcc, s[8:9]
	v_mov_b32_e32 v1, v0
	s_andn2_b64 exec, exec, s[8:9]
	s_cbranch_execnz .LBB14_5
	s_branch .LBB14_2
.LBB14_6:
	s_endpgm
	.section	.rodata,"a",@progbits
	.p2align	6, 0x0
	.amdhsa_kernel _Z28SingleRangeAtomicOnGlobalMemIfEvPT_ii
		.amdhsa_group_segment_fixed_size 0
		.amdhsa_private_segment_fixed_size 0
		.amdhsa_kernarg_size 272
		.amdhsa_user_sgpr_count 6
		.amdhsa_user_sgpr_private_segment_buffer 1
		.amdhsa_user_sgpr_dispatch_ptr 0
		.amdhsa_user_sgpr_queue_ptr 0
		.amdhsa_user_sgpr_kernarg_segment_ptr 1
		.amdhsa_user_sgpr_dispatch_id 0
		.amdhsa_user_sgpr_flat_scratch_init 0
		.amdhsa_user_sgpr_private_segment_size 0
		.amdhsa_uses_dynamic_stack 0
		.amdhsa_system_sgpr_private_segment_wavefront_offset 0
		.amdhsa_system_sgpr_workgroup_id_x 1
		.amdhsa_system_sgpr_workgroup_id_y 0
		.amdhsa_system_sgpr_workgroup_id_z 0
		.amdhsa_system_sgpr_workgroup_info 0
		.amdhsa_system_vgpr_workitem_id 0
		.amdhsa_next_free_vgpr 5
		.amdhsa_next_free_sgpr 10
		.amdhsa_reserve_vcc 1
		.amdhsa_reserve_flat_scratch 0
		.amdhsa_float_round_mode_32 0
		.amdhsa_float_round_mode_16_64 0
		.amdhsa_float_denorm_mode_32 3
		.amdhsa_float_denorm_mode_16_64 3
		.amdhsa_dx10_clamp 1
		.amdhsa_ieee_mode 1
		.amdhsa_fp16_overflow 0
		.amdhsa_exception_fp_ieee_invalid_op 0
		.amdhsa_exception_fp_denorm_src 0
		.amdhsa_exception_fp_ieee_div_zero 0
		.amdhsa_exception_fp_ieee_overflow 0
		.amdhsa_exception_fp_ieee_underflow 0
		.amdhsa_exception_fp_ieee_inexact 0
		.amdhsa_exception_int_div_zero 0
	.end_amdhsa_kernel
	.section	.text._Z28SingleRangeAtomicOnGlobalMemIfEvPT_ii,"axG",@progbits,_Z28SingleRangeAtomicOnGlobalMemIfEvPT_ii,comdat
.Lfunc_end14:
	.size	_Z28SingleRangeAtomicOnGlobalMemIfEvPT_ii, .Lfunc_end14-_Z28SingleRangeAtomicOnGlobalMemIfEvPT_ii
                                        ; -- End function
	.set _Z28SingleRangeAtomicOnGlobalMemIfEvPT_ii.num_vgpr, 5
	.set _Z28SingleRangeAtomicOnGlobalMemIfEvPT_ii.num_agpr, 0
	.set _Z28SingleRangeAtomicOnGlobalMemIfEvPT_ii.numbered_sgpr, 10
	.set _Z28SingleRangeAtomicOnGlobalMemIfEvPT_ii.num_named_barrier, 0
	.set _Z28SingleRangeAtomicOnGlobalMemIfEvPT_ii.private_seg_size, 0
	.set _Z28SingleRangeAtomicOnGlobalMemIfEvPT_ii.uses_vcc, 1
	.set _Z28SingleRangeAtomicOnGlobalMemIfEvPT_ii.uses_flat_scratch, 0
	.set _Z28SingleRangeAtomicOnGlobalMemIfEvPT_ii.has_dyn_sized_stack, 0
	.set _Z28SingleRangeAtomicOnGlobalMemIfEvPT_ii.has_recursion, 0
	.set _Z28SingleRangeAtomicOnGlobalMemIfEvPT_ii.has_indirect_call, 0
	.section	.AMDGPU.csdata,"",@progbits
; Kernel info:
; codeLenInByte = 236
; TotalNumSgprs: 14
; NumVgprs: 5
; ScratchSize: 0
; MemoryBound: 0
; FloatMode: 240
; IeeeMode: 1
; LDSByteSize: 0 bytes/workgroup (compile time only)
; SGPRBlocks: 1
; VGPRBlocks: 1
; NumSGPRsForWavesPerEU: 14
; NumVGPRsForWavesPerEU: 5
; Occupancy: 10
; WaveLimiterHint : 0
; COMPUTE_PGM_RSRC2:SCRATCH_EN: 0
; COMPUTE_PGM_RSRC2:USER_SGPR: 6
; COMPUTE_PGM_RSRC2:TRAP_HANDLER: 0
; COMPUTE_PGM_RSRC2:TGID_X_EN: 1
; COMPUTE_PGM_RSRC2:TGID_Y_EN: 0
; COMPUTE_PGM_RSRC2:TGID_Z_EN: 0
; COMPUTE_PGM_RSRC2:TIDIG_COMP_CNT: 0
	.section	.text._Z27BlockRangeAtomicOnSharedMemIfEvPT_i,"axG",@progbits,_Z27BlockRangeAtomicOnSharedMemIfEvPT_i,comdat
	.protected	_Z27BlockRangeAtomicOnSharedMemIfEvPT_i ; -- Begin function _Z27BlockRangeAtomicOnSharedMemIfEvPT_i
	.globl	_Z27BlockRangeAtomicOnSharedMemIfEvPT_i
	.p2align	8
	.type	_Z27BlockRangeAtomicOnSharedMemIfEvPT_i,@function
_Z27BlockRangeAtomicOnSharedMemIfEvPT_i: ; @_Z27BlockRangeAtomicOnSharedMemIfEvPT_i
; %bb.0:
	s_load_dword s0, s[4:5], 0x1c
	s_load_dword s8, s[4:5], 0x8
	;; [unrolled: 1-line block ×3, first 2 shown]
	s_waitcnt lgkmcnt(0)
	s_and_b32 s2, s0, 0xffff
	s_mul_i32 s0, s6, s2
	v_add_u32_e32 v1, s0, v0
	v_cmp_gt_u32_e32 vcc, s8, v1
	v_lshlrev_b32_e32 v0, 2, v0
	s_and_saveexec_b64 s[0:1], vcc
	s_cbranch_execz .LBB15_3
; %bb.1:
	s_mul_i32 s9, s7, s2
	s_mov_b64 s[2:3], 0
	v_mov_b32_e32 v2, 1.0
.LBB15_2:                               ; =>This Inner Loop Header: Depth=1
	ds_add_f32 v0, v2
	v_add_u32_e32 v1, s9, v1
	v_cmp_le_u32_e32 vcc, s8, v1
	s_or_b64 s[2:3], vcc, s[2:3]
	s_andn2_b64 exec, exec, s[2:3]
	s_cbranch_execnz .LBB15_2
.LBB15_3:
	s_or_b64 exec, exec, s[0:1]
	s_cmp_eq_u32 s6, s7
	s_cbranch_scc0 .LBB15_5
; %bb.4:
	s_load_dwordx2 s[0:1], s[4:5], 0x0
	ds_read_b32 v1, v0
	s_waitcnt lgkmcnt(0)
	global_store_dword v0, v1, s[0:1]
.LBB15_5:
	s_endpgm
	.section	.rodata,"a",@progbits
	.p2align	6, 0x0
	.amdhsa_kernel _Z27BlockRangeAtomicOnSharedMemIfEvPT_i
		.amdhsa_group_segment_fixed_size 1024
		.amdhsa_private_segment_fixed_size 0
		.amdhsa_kernarg_size 272
		.amdhsa_user_sgpr_count 6
		.amdhsa_user_sgpr_private_segment_buffer 1
		.amdhsa_user_sgpr_dispatch_ptr 0
		.amdhsa_user_sgpr_queue_ptr 0
		.amdhsa_user_sgpr_kernarg_segment_ptr 1
		.amdhsa_user_sgpr_dispatch_id 0
		.amdhsa_user_sgpr_flat_scratch_init 0
		.amdhsa_user_sgpr_private_segment_size 0
		.amdhsa_uses_dynamic_stack 0
		.amdhsa_system_sgpr_private_segment_wavefront_offset 0
		.amdhsa_system_sgpr_workgroup_id_x 1
		.amdhsa_system_sgpr_workgroup_id_y 0
		.amdhsa_system_sgpr_workgroup_id_z 0
		.amdhsa_system_sgpr_workgroup_info 0
		.amdhsa_system_vgpr_workitem_id 0
		.amdhsa_next_free_vgpr 3
		.amdhsa_next_free_sgpr 10
		.amdhsa_reserve_vcc 1
		.amdhsa_reserve_flat_scratch 0
		.amdhsa_float_round_mode_32 0
		.amdhsa_float_round_mode_16_64 0
		.amdhsa_float_denorm_mode_32 3
		.amdhsa_float_denorm_mode_16_64 3
		.amdhsa_dx10_clamp 1
		.amdhsa_ieee_mode 1
		.amdhsa_fp16_overflow 0
		.amdhsa_exception_fp_ieee_invalid_op 0
		.amdhsa_exception_fp_denorm_src 0
		.amdhsa_exception_fp_ieee_div_zero 0
		.amdhsa_exception_fp_ieee_overflow 0
		.amdhsa_exception_fp_ieee_underflow 0
		.amdhsa_exception_fp_ieee_inexact 0
		.amdhsa_exception_int_div_zero 0
	.end_amdhsa_kernel
	.section	.text._Z27BlockRangeAtomicOnSharedMemIfEvPT_i,"axG",@progbits,_Z27BlockRangeAtomicOnSharedMemIfEvPT_i,comdat
.Lfunc_end15:
	.size	_Z27BlockRangeAtomicOnSharedMemIfEvPT_i, .Lfunc_end15-_Z27BlockRangeAtomicOnSharedMemIfEvPT_i
                                        ; -- End function
	.set _Z27BlockRangeAtomicOnSharedMemIfEvPT_i.num_vgpr, 3
	.set _Z27BlockRangeAtomicOnSharedMemIfEvPT_i.num_agpr, 0
	.set _Z27BlockRangeAtomicOnSharedMemIfEvPT_i.numbered_sgpr, 10
	.set _Z27BlockRangeAtomicOnSharedMemIfEvPT_i.num_named_barrier, 0
	.set _Z27BlockRangeAtomicOnSharedMemIfEvPT_i.private_seg_size, 0
	.set _Z27BlockRangeAtomicOnSharedMemIfEvPT_i.uses_vcc, 1
	.set _Z27BlockRangeAtomicOnSharedMemIfEvPT_i.uses_flat_scratch, 0
	.set _Z27BlockRangeAtomicOnSharedMemIfEvPT_i.has_dyn_sized_stack, 0
	.set _Z27BlockRangeAtomicOnSharedMemIfEvPT_i.has_recursion, 0
	.set _Z27BlockRangeAtomicOnSharedMemIfEvPT_i.has_indirect_call, 0
	.section	.AMDGPU.csdata,"",@progbits
; Kernel info:
; codeLenInByte = 144
; TotalNumSgprs: 14
; NumVgprs: 3
; ScratchSize: 0
; MemoryBound: 0
; FloatMode: 240
; IeeeMode: 1
; LDSByteSize: 1024 bytes/workgroup (compile time only)
; SGPRBlocks: 1
; VGPRBlocks: 0
; NumSGPRsForWavesPerEU: 14
; NumVGPRsForWavesPerEU: 3
; Occupancy: 10
; WaveLimiterHint : 0
; COMPUTE_PGM_RSRC2:SCRATCH_EN: 0
; COMPUTE_PGM_RSRC2:USER_SGPR: 6
; COMPUTE_PGM_RSRC2:TRAP_HANDLER: 0
; COMPUTE_PGM_RSRC2:TGID_X_EN: 1
; COMPUTE_PGM_RSRC2:TGID_Y_EN: 0
; COMPUTE_PGM_RSRC2:TGID_Z_EN: 0
; COMPUTE_PGM_RSRC2:TIDIG_COMP_CNT: 0
	.section	.text._Z26WarpRangeAtomicOnSharedMemIfEvPT_i,"axG",@progbits,_Z26WarpRangeAtomicOnSharedMemIfEvPT_i,comdat
	.protected	_Z26WarpRangeAtomicOnSharedMemIfEvPT_i ; -- Begin function _Z26WarpRangeAtomicOnSharedMemIfEvPT_i
	.globl	_Z26WarpRangeAtomicOnSharedMemIfEvPT_i
	.p2align	8
	.type	_Z26WarpRangeAtomicOnSharedMemIfEvPT_i,@function
_Z26WarpRangeAtomicOnSharedMemIfEvPT_i: ; @_Z26WarpRangeAtomicOnSharedMemIfEvPT_i
; %bb.0:
	s_load_dword s0, s[4:5], 0x1c
	s_load_dword s8, s[4:5], 0x8
	;; [unrolled: 1-line block ×3, first 2 shown]
	s_waitcnt lgkmcnt(0)
	s_and_b32 s2, s0, 0xffff
	s_mul_i32 s0, s6, s2
	v_add_u32_e32 v1, s0, v0
	v_cmp_gt_u32_e32 vcc, s8, v1
	s_and_saveexec_b64 s[0:1], vcc
	s_cbranch_execz .LBB16_3
; %bb.1:
	s_mul_i32 s9, s7, s2
	s_mov_b64 s[2:3], 0
	v_mov_b32_e32 v2, 1.0
.LBB16_2:                               ; =>This Inner Loop Header: Depth=1
	v_and_b32_e32 v3, 31, v1
	v_lshlrev_b32_e32 v3, 2, v3
	ds_add_f32 v3, v2
	v_add_u32_e32 v1, s9, v1
	v_cmp_le_u32_e32 vcc, s8, v1
	s_or_b64 s[2:3], vcc, s[2:3]
	s_andn2_b64 exec, exec, s[2:3]
	s_cbranch_execnz .LBB16_2
.LBB16_3:
	s_or_b64 exec, exec, s[0:1]
	s_cmp_eq_u32 s6, s7
	s_cselect_b64 s[0:1], -1, 0
	v_cmp_gt_u32_e32 vcc, 31, v0
	s_and_b64 s[0:1], s[0:1], vcc
	s_and_saveexec_b64 s[2:3], s[0:1]
	s_cbranch_execz .LBB16_5
; %bb.4:
	v_lshlrev_b32_e32 v0, 2, v0
	s_load_dwordx2 s[0:1], s[4:5], 0x0
	ds_read_b32 v1, v0
	s_waitcnt lgkmcnt(0)
	global_store_dword v0, v1, s[0:1]
.LBB16_5:
	s_endpgm
	.section	.rodata,"a",@progbits
	.p2align	6, 0x0
	.amdhsa_kernel _Z26WarpRangeAtomicOnSharedMemIfEvPT_i
		.amdhsa_group_segment_fixed_size 128
		.amdhsa_private_segment_fixed_size 0
		.amdhsa_kernarg_size 272
		.amdhsa_user_sgpr_count 6
		.amdhsa_user_sgpr_private_segment_buffer 1
		.amdhsa_user_sgpr_dispatch_ptr 0
		.amdhsa_user_sgpr_queue_ptr 0
		.amdhsa_user_sgpr_kernarg_segment_ptr 1
		.amdhsa_user_sgpr_dispatch_id 0
		.amdhsa_user_sgpr_flat_scratch_init 0
		.amdhsa_user_sgpr_private_segment_size 0
		.amdhsa_uses_dynamic_stack 0
		.amdhsa_system_sgpr_private_segment_wavefront_offset 0
		.amdhsa_system_sgpr_workgroup_id_x 1
		.amdhsa_system_sgpr_workgroup_id_y 0
		.amdhsa_system_sgpr_workgroup_id_z 0
		.amdhsa_system_sgpr_workgroup_info 0
		.amdhsa_system_vgpr_workitem_id 0
		.amdhsa_next_free_vgpr 4
		.amdhsa_next_free_sgpr 10
		.amdhsa_reserve_vcc 1
		.amdhsa_reserve_flat_scratch 0
		.amdhsa_float_round_mode_32 0
		.amdhsa_float_round_mode_16_64 0
		.amdhsa_float_denorm_mode_32 3
		.amdhsa_float_denorm_mode_16_64 3
		.amdhsa_dx10_clamp 1
		.amdhsa_ieee_mode 1
		.amdhsa_fp16_overflow 0
		.amdhsa_exception_fp_ieee_invalid_op 0
		.amdhsa_exception_fp_denorm_src 0
		.amdhsa_exception_fp_ieee_div_zero 0
		.amdhsa_exception_fp_ieee_overflow 0
		.amdhsa_exception_fp_ieee_underflow 0
		.amdhsa_exception_fp_ieee_inexact 0
		.amdhsa_exception_int_div_zero 0
	.end_amdhsa_kernel
	.section	.text._Z26WarpRangeAtomicOnSharedMemIfEvPT_i,"axG",@progbits,_Z26WarpRangeAtomicOnSharedMemIfEvPT_i,comdat
.Lfunc_end16:
	.size	_Z26WarpRangeAtomicOnSharedMemIfEvPT_i, .Lfunc_end16-_Z26WarpRangeAtomicOnSharedMemIfEvPT_i
                                        ; -- End function
	.set _Z26WarpRangeAtomicOnSharedMemIfEvPT_i.num_vgpr, 4
	.set _Z26WarpRangeAtomicOnSharedMemIfEvPT_i.num_agpr, 0
	.set _Z26WarpRangeAtomicOnSharedMemIfEvPT_i.numbered_sgpr, 10
	.set _Z26WarpRangeAtomicOnSharedMemIfEvPT_i.num_named_barrier, 0
	.set _Z26WarpRangeAtomicOnSharedMemIfEvPT_i.private_seg_size, 0
	.set _Z26WarpRangeAtomicOnSharedMemIfEvPT_i.uses_vcc, 1
	.set _Z26WarpRangeAtomicOnSharedMemIfEvPT_i.uses_flat_scratch, 0
	.set _Z26WarpRangeAtomicOnSharedMemIfEvPT_i.has_dyn_sized_stack, 0
	.set _Z26WarpRangeAtomicOnSharedMemIfEvPT_i.has_recursion, 0
	.set _Z26WarpRangeAtomicOnSharedMemIfEvPT_i.has_indirect_call, 0
	.section	.AMDGPU.csdata,"",@progbits
; Kernel info:
; codeLenInByte = 168
; TotalNumSgprs: 14
; NumVgprs: 4
; ScratchSize: 0
; MemoryBound: 0
; FloatMode: 240
; IeeeMode: 1
; LDSByteSize: 128 bytes/workgroup (compile time only)
; SGPRBlocks: 1
; VGPRBlocks: 0
; NumSGPRsForWavesPerEU: 14
; NumVGPRsForWavesPerEU: 4
; Occupancy: 10
; WaveLimiterHint : 0
; COMPUTE_PGM_RSRC2:SCRATCH_EN: 0
; COMPUTE_PGM_RSRC2:USER_SGPR: 6
; COMPUTE_PGM_RSRC2:TRAP_HANDLER: 0
; COMPUTE_PGM_RSRC2:TGID_X_EN: 1
; COMPUTE_PGM_RSRC2:TGID_Y_EN: 0
; COMPUTE_PGM_RSRC2:TGID_Z_EN: 0
; COMPUTE_PGM_RSRC2:TIDIG_COMP_CNT: 0
	.section	.text._Z28SingleRangeAtomicOnSharedMemIfEvPT_ii,"axG",@progbits,_Z28SingleRangeAtomicOnSharedMemIfEvPT_ii,comdat
	.protected	_Z28SingleRangeAtomicOnSharedMemIfEvPT_ii ; -- Begin function _Z28SingleRangeAtomicOnSharedMemIfEvPT_ii
	.globl	_Z28SingleRangeAtomicOnSharedMemIfEvPT_ii
	.p2align	8
	.type	_Z28SingleRangeAtomicOnSharedMemIfEvPT_ii,@function
_Z28SingleRangeAtomicOnSharedMemIfEvPT_ii: ; @_Z28SingleRangeAtomicOnSharedMemIfEvPT_ii
; %bb.0:
	s_load_dword s2, s[4:5], 0x1c
	s_load_dwordx2 s[0:1], s[4:5], 0x8
	s_load_dword s7, s[4:5], 0x10
	s_waitcnt lgkmcnt(0)
	s_and_b32 s8, s2, 0xffff
	s_mul_i32 s2, s6, s8
	v_add_u32_e32 v1, s2, v0
	v_cmp_gt_u32_e32 vcc, s1, v1
	s_and_saveexec_b64 s[2:3], vcc
	s_cbranch_execz .LBB17_5
; %bb.1:
	s_lshl_b32 s0, s0, 2
	s_mul_i32 s14, s7, s8
	s_mov_b64 s[8:9], 0
	s_branch .LBB17_3
.LBB17_2:                               ;   in Loop: Header=BB17_3 Depth=1
	s_or_b64 exec, exec, s[10:11]
	v_add_u32_e32 v1, s14, v1
	v_cmp_le_u32_e32 vcc, s1, v1
	s_or_b64 s[8:9], vcc, s[8:9]
	s_andn2_b64 exec, exec, s[8:9]
	s_cbranch_execz .LBB17_5
.LBB17_3:                               ; =>This Inner Loop Header: Depth=1
	s_mov_b64 s[12:13], exec
	v_mbcnt_lo_u32_b32 v2, s12, 0
	v_mbcnt_hi_u32_b32 v2, s13, v2
	v_cmp_eq_u32_e32 vcc, 0, v2
	s_and_saveexec_b64 s[10:11], vcc
	s_cbranch_execz .LBB17_2
; %bb.4:                                ;   in Loop: Header=BB17_3 Depth=1
	s_bcnt1_i32_b64 s12, s[12:13]
	v_cvt_f32_ubyte0_e32 v2, s12
	v_mov_b32_e32 v3, s0
	ds_add_f32 v3, v2
	s_branch .LBB17_2
.LBB17_5:
	s_or_b64 exec, exec, s[2:3]
	s_cmp_eq_u32 s6, s7
	s_cselect_b64 s[0:1], -1, 0
	v_cmp_eq_u32_e32 vcc, 0, v0
	s_and_b64 s[0:1], vcc, s[0:1]
	s_and_saveexec_b64 s[2:3], s[0:1]
	s_cbranch_execz .LBB17_7
; %bb.6:
	v_mov_b32_e32 v0, 0
	s_load_dwordx2 s[0:1], s[4:5], 0x0
	ds_read_b32 v1, v0
	s_waitcnt lgkmcnt(0)
	global_store_dword v0, v1, s[0:1]
.LBB17_7:
	s_endpgm
	.section	.rodata,"a",@progbits
	.p2align	6, 0x0
	.amdhsa_kernel _Z28SingleRangeAtomicOnSharedMemIfEvPT_ii
		.amdhsa_group_segment_fixed_size 1024
		.amdhsa_private_segment_fixed_size 0
		.amdhsa_kernarg_size 272
		.amdhsa_user_sgpr_count 6
		.amdhsa_user_sgpr_private_segment_buffer 1
		.amdhsa_user_sgpr_dispatch_ptr 0
		.amdhsa_user_sgpr_queue_ptr 0
		.amdhsa_user_sgpr_kernarg_segment_ptr 1
		.amdhsa_user_sgpr_dispatch_id 0
		.amdhsa_user_sgpr_flat_scratch_init 0
		.amdhsa_user_sgpr_private_segment_size 0
		.amdhsa_uses_dynamic_stack 0
		.amdhsa_system_sgpr_private_segment_wavefront_offset 0
		.amdhsa_system_sgpr_workgroup_id_x 1
		.amdhsa_system_sgpr_workgroup_id_y 0
		.amdhsa_system_sgpr_workgroup_id_z 0
		.amdhsa_system_sgpr_workgroup_info 0
		.amdhsa_system_vgpr_workitem_id 0
		.amdhsa_next_free_vgpr 4
		.amdhsa_next_free_sgpr 15
		.amdhsa_reserve_vcc 1
		.amdhsa_reserve_flat_scratch 0
		.amdhsa_float_round_mode_32 0
		.amdhsa_float_round_mode_16_64 0
		.amdhsa_float_denorm_mode_32 3
		.amdhsa_float_denorm_mode_16_64 3
		.amdhsa_dx10_clamp 1
		.amdhsa_ieee_mode 1
		.amdhsa_fp16_overflow 0
		.amdhsa_exception_fp_ieee_invalid_op 0
		.amdhsa_exception_fp_denorm_src 0
		.amdhsa_exception_fp_ieee_div_zero 0
		.amdhsa_exception_fp_ieee_overflow 0
		.amdhsa_exception_fp_ieee_underflow 0
		.amdhsa_exception_fp_ieee_inexact 0
		.amdhsa_exception_int_div_zero 0
	.end_amdhsa_kernel
	.section	.text._Z28SingleRangeAtomicOnSharedMemIfEvPT_ii,"axG",@progbits,_Z28SingleRangeAtomicOnSharedMemIfEvPT_ii,comdat
.Lfunc_end17:
	.size	_Z28SingleRangeAtomicOnSharedMemIfEvPT_ii, .Lfunc_end17-_Z28SingleRangeAtomicOnSharedMemIfEvPT_ii
                                        ; -- End function
	.set _Z28SingleRangeAtomicOnSharedMemIfEvPT_ii.num_vgpr, 4
	.set _Z28SingleRangeAtomicOnSharedMemIfEvPT_ii.num_agpr, 0
	.set _Z28SingleRangeAtomicOnSharedMemIfEvPT_ii.numbered_sgpr, 15
	.set _Z28SingleRangeAtomicOnSharedMemIfEvPT_ii.num_named_barrier, 0
	.set _Z28SingleRangeAtomicOnSharedMemIfEvPT_ii.private_seg_size, 0
	.set _Z28SingleRangeAtomicOnSharedMemIfEvPT_ii.uses_vcc, 1
	.set _Z28SingleRangeAtomicOnSharedMemIfEvPT_ii.uses_flat_scratch, 0
	.set _Z28SingleRangeAtomicOnSharedMemIfEvPT_ii.has_dyn_sized_stack, 0
	.set _Z28SingleRangeAtomicOnSharedMemIfEvPT_ii.has_recursion, 0
	.set _Z28SingleRangeAtomicOnSharedMemIfEvPT_ii.has_indirect_call, 0
	.section	.AMDGPU.csdata,"",@progbits
; Kernel info:
; codeLenInByte = 216
; TotalNumSgprs: 19
; NumVgprs: 4
; ScratchSize: 0
; MemoryBound: 0
; FloatMode: 240
; IeeeMode: 1
; LDSByteSize: 1024 bytes/workgroup (compile time only)
; SGPRBlocks: 2
; VGPRBlocks: 0
; NumSGPRsForWavesPerEU: 19
; NumVGPRsForWavesPerEU: 4
; Occupancy: 10
; WaveLimiterHint : 0
; COMPUTE_PGM_RSRC2:SCRATCH_EN: 0
; COMPUTE_PGM_RSRC2:USER_SGPR: 6
; COMPUTE_PGM_RSRC2:TRAP_HANDLER: 0
; COMPUTE_PGM_RSRC2:TGID_X_EN: 1
; COMPUTE_PGM_RSRC2:TGID_Y_EN: 0
; COMPUTE_PGM_RSRC2:TGID_Z_EN: 0
; COMPUTE_PGM_RSRC2:TIDIG_COMP_CNT: 0
	.section	.AMDGPU.gpr_maximums,"",@progbits
	.set amdgpu.max_num_vgpr, 0
	.set amdgpu.max_num_agpr, 0
	.set amdgpu.max_num_sgpr, 0
	.section	.AMDGPU.csdata,"",@progbits
	.type	__hip_cuid_40e62544f9dbefd9,@object ; @__hip_cuid_40e62544f9dbefd9
	.section	.bss,"aw",@nobits
	.globl	__hip_cuid_40e62544f9dbefd9
__hip_cuid_40e62544f9dbefd9:
	.byte	0                               ; 0x0
	.size	__hip_cuid_40e62544f9dbefd9, 1

	.ident	"AMD clang version 22.0.0git (https://github.com/RadeonOpenCompute/llvm-project roc-7.2.4 26084 f58b06dce1f9c15707c5f808fd002e18c2accf7e)"
	.section	".note.GNU-stack","",@progbits
	.addrsig
	.addrsig_sym __hip_cuid_40e62544f9dbefd9
	.amdgpu_metadata
---
amdhsa.kernels:
  - .args:
      - .address_space:  global
        .offset:         0
        .size:           8
        .value_kind:     global_buffer
      - .offset:         8
        .size:           4
        .value_kind:     by_value
      - .offset:         16
        .size:           4
        .value_kind:     hidden_block_count_x
      - .offset:         20
        .size:           4
        .value_kind:     hidden_block_count_y
      - .offset:         24
        .size:           4
        .value_kind:     hidden_block_count_z
      - .offset:         28
        .size:           2
        .value_kind:     hidden_group_size_x
      - .offset:         30
        .size:           2
        .value_kind:     hidden_group_size_y
      - .offset:         32
        .size:           2
        .value_kind:     hidden_group_size_z
      - .offset:         34
        .size:           2
        .value_kind:     hidden_remainder_x
      - .offset:         36
        .size:           2
        .value_kind:     hidden_remainder_y
      - .offset:         38
        .size:           2
        .value_kind:     hidden_remainder_z
      - .offset:         56
        .size:           8
        .value_kind:     hidden_global_offset_x
      - .offset:         64
        .size:           8
        .value_kind:     hidden_global_offset_y
      - .offset:         72
        .size:           8
        .value_kind:     hidden_global_offset_z
      - .offset:         80
        .size:           2
        .value_kind:     hidden_grid_dims
    .group_segment_fixed_size: 0
    .kernarg_segment_align: 8
    .kernarg_segment_size: 272
    .language:       OpenCL C
    .language_version:
      - 2
      - 0
    .max_flat_workgroup_size: 1024
    .name:           _Z27BlockRangeAtomicOnGlobalMemIdEvPT_i
    .private_segment_fixed_size: 0
    .sgpr_count:     14
    .sgpr_spill_count: 0
    .symbol:         _Z27BlockRangeAtomicOnGlobalMemIdEvPT_i.kd
    .uniform_work_group_size: 1
    .uses_dynamic_stack: false
    .vgpr_count:     7
    .vgpr_spill_count: 0
    .wavefront_size: 64
  - .args:
      - .address_space:  global
        .offset:         0
        .size:           8
        .value_kind:     global_buffer
      - .offset:         8
        .size:           4
        .value_kind:     by_value
      - .offset:         16
        .size:           4
        .value_kind:     hidden_block_count_x
      - .offset:         20
        .size:           4
        .value_kind:     hidden_block_count_y
      - .offset:         24
        .size:           4
        .value_kind:     hidden_block_count_z
      - .offset:         28
        .size:           2
        .value_kind:     hidden_group_size_x
      - .offset:         30
        .size:           2
        .value_kind:     hidden_group_size_y
      - .offset:         32
        .size:           2
        .value_kind:     hidden_group_size_z
      - .offset:         34
        .size:           2
        .value_kind:     hidden_remainder_x
      - .offset:         36
        .size:           2
        .value_kind:     hidden_remainder_y
      - .offset:         38
        .size:           2
        .value_kind:     hidden_remainder_z
      - .offset:         56
        .size:           8
        .value_kind:     hidden_global_offset_x
      - .offset:         64
        .size:           8
        .value_kind:     hidden_global_offset_y
      - .offset:         72
        .size:           8
        .value_kind:     hidden_global_offset_z
      - .offset:         80
        .size:           2
        .value_kind:     hidden_grid_dims
    .group_segment_fixed_size: 0
    .kernarg_segment_align: 8
    .kernarg_segment_size: 272
    .language:       OpenCL C
    .language_version:
      - 2
      - 0
    .max_flat_workgroup_size: 1024
    .name:           _Z26WarpRangeAtomicOnGlobalMemIdEvPT_i
    .private_segment_fixed_size: 0
    .sgpr_count:     13
    .sgpr_spill_count: 0
    .symbol:         _Z26WarpRangeAtomicOnGlobalMemIdEvPT_i.kd
    .uniform_work_group_size: 1
    .uses_dynamic_stack: false
    .vgpr_count:     8
    .vgpr_spill_count: 0
    .wavefront_size: 64
  - .args:
      - .address_space:  global
        .offset:         0
        .size:           8
        .value_kind:     global_buffer
      - .offset:         8
        .size:           4
        .value_kind:     by_value
      - .offset:         12
        .size:           4
        .value_kind:     by_value
      - .offset:         16
        .size:           4
        .value_kind:     hidden_block_count_x
      - .offset:         20
        .size:           4
        .value_kind:     hidden_block_count_y
      - .offset:         24
        .size:           4
        .value_kind:     hidden_block_count_z
      - .offset:         28
        .size:           2
        .value_kind:     hidden_group_size_x
      - .offset:         30
        .size:           2
        .value_kind:     hidden_group_size_y
      - .offset:         32
        .size:           2
        .value_kind:     hidden_group_size_z
      - .offset:         34
        .size:           2
        .value_kind:     hidden_remainder_x
      - .offset:         36
        .size:           2
        .value_kind:     hidden_remainder_y
      - .offset:         38
        .size:           2
        .value_kind:     hidden_remainder_z
      - .offset:         56
        .size:           8
        .value_kind:     hidden_global_offset_x
      - .offset:         64
        .size:           8
        .value_kind:     hidden_global_offset_y
      - .offset:         72
        .size:           8
        .value_kind:     hidden_global_offset_z
      - .offset:         80
        .size:           2
        .value_kind:     hidden_grid_dims
    .group_segment_fixed_size: 0
    .kernarg_segment_align: 8
    .kernarg_segment_size: 272
    .language:       OpenCL C
    .language_version:
      - 2
      - 0
    .max_flat_workgroup_size: 1024
    .name:           _Z28SingleRangeAtomicOnGlobalMemIdEvPT_ii
    .private_segment_fixed_size: 0
    .sgpr_count:     14
    .sgpr_spill_count: 0
    .symbol:         _Z28SingleRangeAtomicOnGlobalMemIdEvPT_ii.kd
    .uniform_work_group_size: 1
    .uses_dynamic_stack: false
    .vgpr_count:     8
    .vgpr_spill_count: 0
    .wavefront_size: 64
  - .args:
      - .address_space:  global
        .offset:         0
        .size:           8
        .value_kind:     global_buffer
      - .offset:         8
        .size:           4
        .value_kind:     by_value
      - .offset:         16
        .size:           4
        .value_kind:     hidden_block_count_x
      - .offset:         20
        .size:           4
        .value_kind:     hidden_block_count_y
      - .offset:         24
        .size:           4
        .value_kind:     hidden_block_count_z
      - .offset:         28
        .size:           2
        .value_kind:     hidden_group_size_x
      - .offset:         30
        .size:           2
        .value_kind:     hidden_group_size_y
      - .offset:         32
        .size:           2
        .value_kind:     hidden_group_size_z
      - .offset:         34
        .size:           2
        .value_kind:     hidden_remainder_x
      - .offset:         36
        .size:           2
        .value_kind:     hidden_remainder_y
      - .offset:         38
        .size:           2
        .value_kind:     hidden_remainder_z
      - .offset:         56
        .size:           8
        .value_kind:     hidden_global_offset_x
      - .offset:         64
        .size:           8
        .value_kind:     hidden_global_offset_y
      - .offset:         72
        .size:           8
        .value_kind:     hidden_global_offset_z
      - .offset:         80
        .size:           2
        .value_kind:     hidden_grid_dims
    .group_segment_fixed_size: 2048
    .kernarg_segment_align: 8
    .kernarg_segment_size: 272
    .language:       OpenCL C
    .language_version:
      - 2
      - 0
    .max_flat_workgroup_size: 1024
    .name:           _Z27BlockRangeAtomicOnSharedMemIdEvPT_i
    .private_segment_fixed_size: 0
    .sgpr_count:     16
    .sgpr_spill_count: 0
    .symbol:         _Z27BlockRangeAtomicOnSharedMemIdEvPT_i.kd
    .uniform_work_group_size: 1
    .uses_dynamic_stack: false
    .vgpr_count:     6
    .vgpr_spill_count: 0
    .wavefront_size: 64
  - .args:
      - .address_space:  global
        .offset:         0
        .size:           8
        .value_kind:     global_buffer
      - .offset:         8
        .size:           4
        .value_kind:     by_value
      - .offset:         16
        .size:           4
        .value_kind:     hidden_block_count_x
      - .offset:         20
        .size:           4
        .value_kind:     hidden_block_count_y
      - .offset:         24
        .size:           4
        .value_kind:     hidden_block_count_z
      - .offset:         28
        .size:           2
        .value_kind:     hidden_group_size_x
      - .offset:         30
        .size:           2
        .value_kind:     hidden_group_size_y
      - .offset:         32
        .size:           2
        .value_kind:     hidden_group_size_z
      - .offset:         34
        .size:           2
        .value_kind:     hidden_remainder_x
      - .offset:         36
        .size:           2
        .value_kind:     hidden_remainder_y
      - .offset:         38
        .size:           2
        .value_kind:     hidden_remainder_z
      - .offset:         56
        .size:           8
        .value_kind:     hidden_global_offset_x
      - .offset:         64
        .size:           8
        .value_kind:     hidden_global_offset_y
      - .offset:         72
        .size:           8
        .value_kind:     hidden_global_offset_z
      - .offset:         80
        .size:           2
        .value_kind:     hidden_grid_dims
    .group_segment_fixed_size: 256
    .kernarg_segment_align: 8
    .kernarg_segment_size: 272
    .language:       OpenCL C
    .language_version:
      - 2
      - 0
    .max_flat_workgroup_size: 1024
    .name:           _Z26WarpRangeAtomicOnSharedMemIdEvPT_i
    .private_segment_fixed_size: 0
    .sgpr_count:     16
    .sgpr_spill_count: 0
    .symbol:         _Z26WarpRangeAtomicOnSharedMemIdEvPT_i.kd
    .uniform_work_group_size: 1
    .uses_dynamic_stack: false
    .vgpr_count:     7
    .vgpr_spill_count: 0
    .wavefront_size: 64
  - .args:
      - .address_space:  global
        .offset:         0
        .size:           8
        .value_kind:     global_buffer
      - .offset:         8
        .size:           4
        .value_kind:     by_value
      - .offset:         12
        .size:           4
        .value_kind:     by_value
      - .offset:         16
        .size:           4
        .value_kind:     hidden_block_count_x
      - .offset:         20
        .size:           4
        .value_kind:     hidden_block_count_y
      - .offset:         24
        .size:           4
        .value_kind:     hidden_block_count_z
      - .offset:         28
        .size:           2
        .value_kind:     hidden_group_size_x
      - .offset:         30
        .size:           2
        .value_kind:     hidden_group_size_y
      - .offset:         32
        .size:           2
        .value_kind:     hidden_group_size_z
      - .offset:         34
        .size:           2
        .value_kind:     hidden_remainder_x
      - .offset:         36
        .size:           2
        .value_kind:     hidden_remainder_y
      - .offset:         38
        .size:           2
        .value_kind:     hidden_remainder_z
      - .offset:         56
        .size:           8
        .value_kind:     hidden_global_offset_x
      - .offset:         64
        .size:           8
        .value_kind:     hidden_global_offset_y
      - .offset:         72
        .size:           8
        .value_kind:     hidden_global_offset_z
      - .offset:         80
        .size:           2
        .value_kind:     hidden_grid_dims
    .group_segment_fixed_size: 2048
    .kernarg_segment_align: 8
    .kernarg_segment_size: 272
    .language:       OpenCL C
    .language_version:
      - 2
      - 0
    .max_flat_workgroup_size: 1024
    .name:           _Z28SingleRangeAtomicOnSharedMemIdEvPT_ii
    .private_segment_fixed_size: 0
    .sgpr_count:     19
    .sgpr_spill_count: 0
    .symbol:         _Z28SingleRangeAtomicOnSharedMemIdEvPT_ii.kd
    .uniform_work_group_size: 1
    .uses_dynamic_stack: false
    .vgpr_count:     9
    .vgpr_spill_count: 0
    .wavefront_size: 64
  - .args:
      - .address_space:  global
        .offset:         0
        .size:           8
        .value_kind:     global_buffer
      - .offset:         8
        .size:           4
        .value_kind:     by_value
      - .offset:         16
        .size:           4
        .value_kind:     hidden_block_count_x
      - .offset:         20
        .size:           4
        .value_kind:     hidden_block_count_y
      - .offset:         24
        .size:           4
        .value_kind:     hidden_block_count_z
      - .offset:         28
        .size:           2
        .value_kind:     hidden_group_size_x
      - .offset:         30
        .size:           2
        .value_kind:     hidden_group_size_y
      - .offset:         32
        .size:           2
        .value_kind:     hidden_group_size_z
      - .offset:         34
        .size:           2
        .value_kind:     hidden_remainder_x
      - .offset:         36
        .size:           2
        .value_kind:     hidden_remainder_y
      - .offset:         38
        .size:           2
        .value_kind:     hidden_remainder_z
      - .offset:         56
        .size:           8
        .value_kind:     hidden_global_offset_x
      - .offset:         64
        .size:           8
        .value_kind:     hidden_global_offset_y
      - .offset:         72
        .size:           8
        .value_kind:     hidden_global_offset_z
      - .offset:         80
        .size:           2
        .value_kind:     hidden_grid_dims
    .group_segment_fixed_size: 0
    .kernarg_segment_align: 8
    .kernarg_segment_size: 272
    .language:       OpenCL C
    .language_version:
      - 2
      - 0
    .max_flat_workgroup_size: 1024
    .name:           _Z27BlockRangeAtomicOnGlobalMemIiEvPT_i
    .private_segment_fixed_size: 0
    .sgpr_count:     13
    .sgpr_spill_count: 0
    .symbol:         _Z27BlockRangeAtomicOnGlobalMemIiEvPT_i.kd
    .uniform_work_group_size: 1
    .uses_dynamic_stack: false
    .vgpr_count:     4
    .vgpr_spill_count: 0
    .wavefront_size: 64
  - .args:
      - .address_space:  global
        .offset:         0
        .size:           8
        .value_kind:     global_buffer
      - .offset:         8
        .size:           4
        .value_kind:     by_value
      - .offset:         16
        .size:           4
        .value_kind:     hidden_block_count_x
      - .offset:         20
        .size:           4
        .value_kind:     hidden_block_count_y
      - .offset:         24
        .size:           4
        .value_kind:     hidden_block_count_z
      - .offset:         28
        .size:           2
        .value_kind:     hidden_group_size_x
      - .offset:         30
        .size:           2
        .value_kind:     hidden_group_size_y
      - .offset:         32
        .size:           2
        .value_kind:     hidden_group_size_z
      - .offset:         34
        .size:           2
        .value_kind:     hidden_remainder_x
      - .offset:         36
        .size:           2
        .value_kind:     hidden_remainder_y
      - .offset:         38
        .size:           2
        .value_kind:     hidden_remainder_z
      - .offset:         56
        .size:           8
        .value_kind:     hidden_global_offset_x
      - .offset:         64
        .size:           8
        .value_kind:     hidden_global_offset_y
      - .offset:         72
        .size:           8
        .value_kind:     hidden_global_offset_z
      - .offset:         80
        .size:           2
        .value_kind:     hidden_grid_dims
    .group_segment_fixed_size: 0
    .kernarg_segment_align: 8
    .kernarg_segment_size: 272
    .language:       OpenCL C
    .language_version:
      - 2
      - 0
    .max_flat_workgroup_size: 1024
    .name:           _Z26WarpRangeAtomicOnGlobalMemIiEvPT_i
    .private_segment_fixed_size: 0
    .sgpr_count:     13
    .sgpr_spill_count: 0
    .symbol:         _Z26WarpRangeAtomicOnGlobalMemIiEvPT_i.kd
    .uniform_work_group_size: 1
    .uses_dynamic_stack: false
    .vgpr_count:     3
    .vgpr_spill_count: 0
    .wavefront_size: 64
  - .args:
      - .address_space:  global
        .offset:         0
        .size:           8
        .value_kind:     global_buffer
      - .offset:         8
        .size:           4
        .value_kind:     by_value
      - .offset:         12
        .size:           4
        .value_kind:     by_value
      - .offset:         16
        .size:           4
        .value_kind:     hidden_block_count_x
      - .offset:         20
        .size:           4
        .value_kind:     hidden_block_count_y
      - .offset:         24
        .size:           4
        .value_kind:     hidden_block_count_z
      - .offset:         28
        .size:           2
        .value_kind:     hidden_group_size_x
      - .offset:         30
        .size:           2
        .value_kind:     hidden_group_size_y
      - .offset:         32
        .size:           2
        .value_kind:     hidden_group_size_z
      - .offset:         34
        .size:           2
        .value_kind:     hidden_remainder_x
      - .offset:         36
        .size:           2
        .value_kind:     hidden_remainder_y
      - .offset:         38
        .size:           2
        .value_kind:     hidden_remainder_z
      - .offset:         56
        .size:           8
        .value_kind:     hidden_global_offset_x
      - .offset:         64
        .size:           8
        .value_kind:     hidden_global_offset_y
      - .offset:         72
        .size:           8
        .value_kind:     hidden_global_offset_z
      - .offset:         80
        .size:           2
        .value_kind:     hidden_grid_dims
    .group_segment_fixed_size: 0
    .kernarg_segment_align: 8
    .kernarg_segment_size: 272
    .language:       OpenCL C
    .language_version:
      - 2
      - 0
    .max_flat_workgroup_size: 1024
    .name:           _Z28SingleRangeAtomicOnGlobalMemIiEvPT_ii
    .private_segment_fixed_size: 0
    .sgpr_count:     14
    .sgpr_spill_count: 0
    .symbol:         _Z28SingleRangeAtomicOnGlobalMemIiEvPT_ii.kd
    .uniform_work_group_size: 1
    .uses_dynamic_stack: false
    .vgpr_count:     3
    .vgpr_spill_count: 0
    .wavefront_size: 64
  - .args:
      - .address_space:  global
        .offset:         0
        .size:           8
        .value_kind:     global_buffer
      - .offset:         8
        .size:           4
        .value_kind:     by_value
      - .offset:         16
        .size:           4
        .value_kind:     hidden_block_count_x
      - .offset:         20
        .size:           4
        .value_kind:     hidden_block_count_y
      - .offset:         24
        .size:           4
        .value_kind:     hidden_block_count_z
      - .offset:         28
        .size:           2
        .value_kind:     hidden_group_size_x
      - .offset:         30
        .size:           2
        .value_kind:     hidden_group_size_y
      - .offset:         32
        .size:           2
        .value_kind:     hidden_group_size_z
      - .offset:         34
        .size:           2
        .value_kind:     hidden_remainder_x
      - .offset:         36
        .size:           2
        .value_kind:     hidden_remainder_y
      - .offset:         38
        .size:           2
        .value_kind:     hidden_remainder_z
      - .offset:         56
        .size:           8
        .value_kind:     hidden_global_offset_x
      - .offset:         64
        .size:           8
        .value_kind:     hidden_global_offset_y
      - .offset:         72
        .size:           8
        .value_kind:     hidden_global_offset_z
      - .offset:         80
        .size:           2
        .value_kind:     hidden_grid_dims
    .group_segment_fixed_size: 1024
    .kernarg_segment_align: 8
    .kernarg_segment_size: 272
    .language:       OpenCL C
    .language_version:
      - 2
      - 0
    .max_flat_workgroup_size: 1024
    .name:           _Z27BlockRangeAtomicOnSharedMemIiEvPT_i
    .private_segment_fixed_size: 0
    .sgpr_count:     14
    .sgpr_spill_count: 0
    .symbol:         _Z27BlockRangeAtomicOnSharedMemIiEvPT_i.kd
    .uniform_work_group_size: 1
    .uses_dynamic_stack: false
    .vgpr_count:     3
    .vgpr_spill_count: 0
    .wavefront_size: 64
  - .args:
      - .address_space:  global
        .offset:         0
        .size:           8
        .value_kind:     global_buffer
      - .offset:         8
        .size:           4
        .value_kind:     by_value
      - .offset:         16
        .size:           4
        .value_kind:     hidden_block_count_x
      - .offset:         20
        .size:           4
        .value_kind:     hidden_block_count_y
      - .offset:         24
        .size:           4
        .value_kind:     hidden_block_count_z
      - .offset:         28
        .size:           2
        .value_kind:     hidden_group_size_x
      - .offset:         30
        .size:           2
        .value_kind:     hidden_group_size_y
      - .offset:         32
        .size:           2
        .value_kind:     hidden_group_size_z
      - .offset:         34
        .size:           2
        .value_kind:     hidden_remainder_x
      - .offset:         36
        .size:           2
        .value_kind:     hidden_remainder_y
      - .offset:         38
        .size:           2
        .value_kind:     hidden_remainder_z
      - .offset:         56
        .size:           8
        .value_kind:     hidden_global_offset_x
      - .offset:         64
        .size:           8
        .value_kind:     hidden_global_offset_y
      - .offset:         72
        .size:           8
        .value_kind:     hidden_global_offset_z
      - .offset:         80
        .size:           2
        .value_kind:     hidden_grid_dims
    .group_segment_fixed_size: 128
    .kernarg_segment_align: 8
    .kernarg_segment_size: 272
    .language:       OpenCL C
    .language_version:
      - 2
      - 0
    .max_flat_workgroup_size: 1024
    .name:           _Z26WarpRangeAtomicOnSharedMemIiEvPT_i
    .private_segment_fixed_size: 0
    .sgpr_count:     14
    .sgpr_spill_count: 0
    .symbol:         _Z26WarpRangeAtomicOnSharedMemIiEvPT_i.kd
    .uniform_work_group_size: 1
    .uses_dynamic_stack: false
    .vgpr_count:     4
    .vgpr_spill_count: 0
    .wavefront_size: 64
  - .args:
      - .address_space:  global
        .offset:         0
        .size:           8
        .value_kind:     global_buffer
      - .offset:         8
        .size:           4
        .value_kind:     by_value
      - .offset:         12
        .size:           4
        .value_kind:     by_value
      - .offset:         16
        .size:           4
        .value_kind:     hidden_block_count_x
      - .offset:         20
        .size:           4
        .value_kind:     hidden_block_count_y
      - .offset:         24
        .size:           4
        .value_kind:     hidden_block_count_z
      - .offset:         28
        .size:           2
        .value_kind:     hidden_group_size_x
      - .offset:         30
        .size:           2
        .value_kind:     hidden_group_size_y
      - .offset:         32
        .size:           2
        .value_kind:     hidden_group_size_z
      - .offset:         34
        .size:           2
        .value_kind:     hidden_remainder_x
      - .offset:         36
        .size:           2
        .value_kind:     hidden_remainder_y
      - .offset:         38
        .size:           2
        .value_kind:     hidden_remainder_z
      - .offset:         56
        .size:           8
        .value_kind:     hidden_global_offset_x
      - .offset:         64
        .size:           8
        .value_kind:     hidden_global_offset_y
      - .offset:         72
        .size:           8
        .value_kind:     hidden_global_offset_z
      - .offset:         80
        .size:           2
        .value_kind:     hidden_grid_dims
    .group_segment_fixed_size: 1024
    .kernarg_segment_align: 8
    .kernarg_segment_size: 272
    .language:       OpenCL C
    .language_version:
      - 2
      - 0
    .max_flat_workgroup_size: 1024
    .name:           _Z28SingleRangeAtomicOnSharedMemIiEvPT_ii
    .private_segment_fixed_size: 0
    .sgpr_count:     19
    .sgpr_spill_count: 0
    .symbol:         _Z28SingleRangeAtomicOnSharedMemIiEvPT_ii.kd
    .uniform_work_group_size: 1
    .uses_dynamic_stack: false
    .vgpr_count:     4
    .vgpr_spill_count: 0
    .wavefront_size: 64
  - .args:
      - .address_space:  global
        .offset:         0
        .size:           8
        .value_kind:     global_buffer
      - .offset:         8
        .size:           4
        .value_kind:     by_value
      - .offset:         16
        .size:           4
        .value_kind:     hidden_block_count_x
      - .offset:         20
        .size:           4
        .value_kind:     hidden_block_count_y
      - .offset:         24
        .size:           4
        .value_kind:     hidden_block_count_z
      - .offset:         28
        .size:           2
        .value_kind:     hidden_group_size_x
      - .offset:         30
        .size:           2
        .value_kind:     hidden_group_size_y
      - .offset:         32
        .size:           2
        .value_kind:     hidden_group_size_z
      - .offset:         34
        .size:           2
        .value_kind:     hidden_remainder_x
      - .offset:         36
        .size:           2
        .value_kind:     hidden_remainder_y
      - .offset:         38
        .size:           2
        .value_kind:     hidden_remainder_z
      - .offset:         56
        .size:           8
        .value_kind:     hidden_global_offset_x
      - .offset:         64
        .size:           8
        .value_kind:     hidden_global_offset_y
      - .offset:         72
        .size:           8
        .value_kind:     hidden_global_offset_z
      - .offset:         80
        .size:           2
        .value_kind:     hidden_grid_dims
    .group_segment_fixed_size: 0
    .kernarg_segment_align: 8
    .kernarg_segment_size: 272
    .language:       OpenCL C
    .language_version:
      - 2
      - 0
    .max_flat_workgroup_size: 1024
    .name:           _Z27BlockRangeAtomicOnGlobalMemIfEvPT_i
    .private_segment_fixed_size: 0
    .sgpr_count:     14
    .sgpr_spill_count: 0
    .symbol:         _Z27BlockRangeAtomicOnGlobalMemIfEvPT_i.kd
    .uniform_work_group_size: 1
    .uses_dynamic_stack: false
    .vgpr_count:     5
    .vgpr_spill_count: 0
    .wavefront_size: 64
  - .args:
      - .address_space:  global
        .offset:         0
        .size:           8
        .value_kind:     global_buffer
      - .offset:         8
        .size:           4
        .value_kind:     by_value
      - .offset:         16
        .size:           4
        .value_kind:     hidden_block_count_x
      - .offset:         20
        .size:           4
        .value_kind:     hidden_block_count_y
      - .offset:         24
        .size:           4
        .value_kind:     hidden_block_count_z
      - .offset:         28
        .size:           2
        .value_kind:     hidden_group_size_x
      - .offset:         30
        .size:           2
        .value_kind:     hidden_group_size_y
      - .offset:         32
        .size:           2
        .value_kind:     hidden_group_size_z
      - .offset:         34
        .size:           2
        .value_kind:     hidden_remainder_x
      - .offset:         36
        .size:           2
        .value_kind:     hidden_remainder_y
      - .offset:         38
        .size:           2
        .value_kind:     hidden_remainder_z
      - .offset:         56
        .size:           8
        .value_kind:     hidden_global_offset_x
      - .offset:         64
        .size:           8
        .value_kind:     hidden_global_offset_y
      - .offset:         72
        .size:           8
        .value_kind:     hidden_global_offset_z
      - .offset:         80
        .size:           2
        .value_kind:     hidden_grid_dims
    .group_segment_fixed_size: 0
    .kernarg_segment_align: 8
    .kernarg_segment_size: 272
    .language:       OpenCL C
    .language_version:
      - 2
      - 0
    .max_flat_workgroup_size: 1024
    .name:           _Z26WarpRangeAtomicOnGlobalMemIfEvPT_i
    .private_segment_fixed_size: 0
    .sgpr_count:     13
    .sgpr_spill_count: 0
    .symbol:         _Z26WarpRangeAtomicOnGlobalMemIfEvPT_i.kd
    .uniform_work_group_size: 1
    .uses_dynamic_stack: false
    .vgpr_count:     6
    .vgpr_spill_count: 0
    .wavefront_size: 64
  - .args:
      - .address_space:  global
        .offset:         0
        .size:           8
        .value_kind:     global_buffer
      - .offset:         8
        .size:           4
        .value_kind:     by_value
      - .offset:         12
        .size:           4
        .value_kind:     by_value
      - .offset:         16
        .size:           4
        .value_kind:     hidden_block_count_x
      - .offset:         20
        .size:           4
        .value_kind:     hidden_block_count_y
      - .offset:         24
        .size:           4
        .value_kind:     hidden_block_count_z
      - .offset:         28
        .size:           2
        .value_kind:     hidden_group_size_x
      - .offset:         30
        .size:           2
        .value_kind:     hidden_group_size_y
      - .offset:         32
        .size:           2
        .value_kind:     hidden_group_size_z
      - .offset:         34
        .size:           2
        .value_kind:     hidden_remainder_x
      - .offset:         36
        .size:           2
        .value_kind:     hidden_remainder_y
      - .offset:         38
        .size:           2
        .value_kind:     hidden_remainder_z
      - .offset:         56
        .size:           8
        .value_kind:     hidden_global_offset_x
      - .offset:         64
        .size:           8
        .value_kind:     hidden_global_offset_y
      - .offset:         72
        .size:           8
        .value_kind:     hidden_global_offset_z
      - .offset:         80
        .size:           2
        .value_kind:     hidden_grid_dims
    .group_segment_fixed_size: 0
    .kernarg_segment_align: 8
    .kernarg_segment_size: 272
    .language:       OpenCL C
    .language_version:
      - 2
      - 0
    .max_flat_workgroup_size: 1024
    .name:           _Z28SingleRangeAtomicOnGlobalMemIfEvPT_ii
    .private_segment_fixed_size: 0
    .sgpr_count:     14
    .sgpr_spill_count: 0
    .symbol:         _Z28SingleRangeAtomicOnGlobalMemIfEvPT_ii.kd
    .uniform_work_group_size: 1
    .uses_dynamic_stack: false
    .vgpr_count:     5
    .vgpr_spill_count: 0
    .wavefront_size: 64
  - .args:
      - .address_space:  global
        .offset:         0
        .size:           8
        .value_kind:     global_buffer
      - .offset:         8
        .size:           4
        .value_kind:     by_value
      - .offset:         16
        .size:           4
        .value_kind:     hidden_block_count_x
      - .offset:         20
        .size:           4
        .value_kind:     hidden_block_count_y
      - .offset:         24
        .size:           4
        .value_kind:     hidden_block_count_z
      - .offset:         28
        .size:           2
        .value_kind:     hidden_group_size_x
      - .offset:         30
        .size:           2
        .value_kind:     hidden_group_size_y
      - .offset:         32
        .size:           2
        .value_kind:     hidden_group_size_z
      - .offset:         34
        .size:           2
        .value_kind:     hidden_remainder_x
      - .offset:         36
        .size:           2
        .value_kind:     hidden_remainder_y
      - .offset:         38
        .size:           2
        .value_kind:     hidden_remainder_z
      - .offset:         56
        .size:           8
        .value_kind:     hidden_global_offset_x
      - .offset:         64
        .size:           8
        .value_kind:     hidden_global_offset_y
      - .offset:         72
        .size:           8
        .value_kind:     hidden_global_offset_z
      - .offset:         80
        .size:           2
        .value_kind:     hidden_grid_dims
    .group_segment_fixed_size: 1024
    .kernarg_segment_align: 8
    .kernarg_segment_size: 272
    .language:       OpenCL C
    .language_version:
      - 2
      - 0
    .max_flat_workgroup_size: 1024
    .name:           _Z27BlockRangeAtomicOnSharedMemIfEvPT_i
    .private_segment_fixed_size: 0
    .sgpr_count:     14
    .sgpr_spill_count: 0
    .symbol:         _Z27BlockRangeAtomicOnSharedMemIfEvPT_i.kd
    .uniform_work_group_size: 1
    .uses_dynamic_stack: false
    .vgpr_count:     3
    .vgpr_spill_count: 0
    .wavefront_size: 64
  - .args:
      - .address_space:  global
        .offset:         0
        .size:           8
        .value_kind:     global_buffer
      - .offset:         8
        .size:           4
        .value_kind:     by_value
      - .offset:         16
        .size:           4
        .value_kind:     hidden_block_count_x
      - .offset:         20
        .size:           4
        .value_kind:     hidden_block_count_y
      - .offset:         24
        .size:           4
        .value_kind:     hidden_block_count_z
      - .offset:         28
        .size:           2
        .value_kind:     hidden_group_size_x
      - .offset:         30
        .size:           2
        .value_kind:     hidden_group_size_y
      - .offset:         32
        .size:           2
        .value_kind:     hidden_group_size_z
      - .offset:         34
        .size:           2
        .value_kind:     hidden_remainder_x
      - .offset:         36
        .size:           2
        .value_kind:     hidden_remainder_y
      - .offset:         38
        .size:           2
        .value_kind:     hidden_remainder_z
      - .offset:         56
        .size:           8
        .value_kind:     hidden_global_offset_x
      - .offset:         64
        .size:           8
        .value_kind:     hidden_global_offset_y
      - .offset:         72
        .size:           8
        .value_kind:     hidden_global_offset_z
      - .offset:         80
        .size:           2
        .value_kind:     hidden_grid_dims
    .group_segment_fixed_size: 128
    .kernarg_segment_align: 8
    .kernarg_segment_size: 272
    .language:       OpenCL C
    .language_version:
      - 2
      - 0
    .max_flat_workgroup_size: 1024
    .name:           _Z26WarpRangeAtomicOnSharedMemIfEvPT_i
    .private_segment_fixed_size: 0
    .sgpr_count:     14
    .sgpr_spill_count: 0
    .symbol:         _Z26WarpRangeAtomicOnSharedMemIfEvPT_i.kd
    .uniform_work_group_size: 1
    .uses_dynamic_stack: false
    .vgpr_count:     4
    .vgpr_spill_count: 0
    .wavefront_size: 64
  - .args:
      - .address_space:  global
        .offset:         0
        .size:           8
        .value_kind:     global_buffer
      - .offset:         8
        .size:           4
        .value_kind:     by_value
      - .offset:         12
        .size:           4
        .value_kind:     by_value
      - .offset:         16
        .size:           4
        .value_kind:     hidden_block_count_x
      - .offset:         20
        .size:           4
        .value_kind:     hidden_block_count_y
      - .offset:         24
        .size:           4
        .value_kind:     hidden_block_count_z
      - .offset:         28
        .size:           2
        .value_kind:     hidden_group_size_x
      - .offset:         30
        .size:           2
        .value_kind:     hidden_group_size_y
      - .offset:         32
        .size:           2
        .value_kind:     hidden_group_size_z
      - .offset:         34
        .size:           2
        .value_kind:     hidden_remainder_x
      - .offset:         36
        .size:           2
        .value_kind:     hidden_remainder_y
      - .offset:         38
        .size:           2
        .value_kind:     hidden_remainder_z
      - .offset:         56
        .size:           8
        .value_kind:     hidden_global_offset_x
      - .offset:         64
        .size:           8
        .value_kind:     hidden_global_offset_y
      - .offset:         72
        .size:           8
        .value_kind:     hidden_global_offset_z
      - .offset:         80
        .size:           2
        .value_kind:     hidden_grid_dims
    .group_segment_fixed_size: 1024
    .kernarg_segment_align: 8
    .kernarg_segment_size: 272
    .language:       OpenCL C
    .language_version:
      - 2
      - 0
    .max_flat_workgroup_size: 1024
    .name:           _Z28SingleRangeAtomicOnSharedMemIfEvPT_ii
    .private_segment_fixed_size: 0
    .sgpr_count:     19
    .sgpr_spill_count: 0
    .symbol:         _Z28SingleRangeAtomicOnSharedMemIfEvPT_ii.kd
    .uniform_work_group_size: 1
    .uses_dynamic_stack: false
    .vgpr_count:     4
    .vgpr_spill_count: 0
    .wavefront_size: 64
amdhsa.target:   amdgcn-amd-amdhsa--gfx906
amdhsa.version:
  - 1
  - 2
...

	.end_amdgpu_metadata
